;; amdgpu-corpus repo=ROCm/rocFFT kind=compiled arch=gfx1100 opt=O3
	.text
	.amdgcn_target "amdgcn-amd-amdhsa--gfx1100"
	.amdhsa_code_object_version 6
	.protected	fft_rtc_fwd_len208_factors_13_16_wgs_144_tpt_16_half_ip_CI_sbcc_twdbase8_2step_dirReg ; -- Begin function fft_rtc_fwd_len208_factors_13_16_wgs_144_tpt_16_half_ip_CI_sbcc_twdbase8_2step_dirReg
	.globl	fft_rtc_fwd_len208_factors_13_16_wgs_144_tpt_16_half_ip_CI_sbcc_twdbase8_2step_dirReg
	.p2align	8
	.type	fft_rtc_fwd_len208_factors_13_16_wgs_144_tpt_16_half_ip_CI_sbcc_twdbase8_2step_dirReg,@function
fft_rtc_fwd_len208_factors_13_16_wgs_144_tpt_16_half_ip_CI_sbcc_twdbase8_2step_dirReg: ; @fft_rtc_fwd_len208_factors_13_16_wgs_144_tpt_16_half_ip_CI_sbcc_twdbase8_2step_dirReg
; %bb.0:
	s_mov_b32 s20, s15
	s_load_b128 s[12:15], s[0:1], 0x18
	s_mov_b32 s21, 0
	s_mov_b64 s[24:25], 0
	s_waitcnt lgkmcnt(0)
	s_load_b64 s[18:19], s[12:13], 0x8
	s_waitcnt lgkmcnt(0)
	s_add_u32 s2, s18, -1
	s_addc_u32 s3, s19, -1
	s_add_u32 s4, 0, 0x71c4fc00
	s_addc_u32 s5, 0, 0x7c
	s_mul_hi_u32 s7, s4, -9
	s_add_i32 s5, s5, 0x1c71c6a0
	s_sub_i32 s7, s7, s4
	s_mul_i32 s9, s5, -9
	s_mul_i32 s6, s4, -9
	s_add_i32 s7, s7, s9
	s_mul_hi_u32 s8, s4, s6
	s_mul_i32 s11, s4, s7
	s_mul_hi_u32 s9, s4, s7
	s_mul_hi_u32 s10, s5, s6
	s_mul_i32 s6, s5, s6
	s_add_u32 s8, s8, s11
	s_addc_u32 s9, 0, s9
	s_mul_hi_u32 s16, s5, s7
	s_add_u32 s6, s8, s6
	s_mul_i32 s7, s5, s7
	s_addc_u32 s6, s9, s10
	s_addc_u32 s8, s16, 0
	s_add_u32 s6, s6, s7
	s_delay_alu instid0(SALU_CYCLE_1) | instskip(SKIP_3) | instid1(VALU_DEP_1)
	v_add_co_u32 v1, s4, s4, s6
	s_addc_u32 s6, 0, s8
	s_cmp_lg_u32 s4, 0
	s_addc_u32 s4, s5, s6
	v_readfirstlane_b32 s5, v1
	s_mul_i32 s7, s2, s4
	s_mul_hi_u32 s6, s2, s4
	s_mul_hi_u32 s8, s3, s4
	s_mul_i32 s4, s3, s4
	s_mul_hi_u32 s9, s2, s5
	s_mul_hi_u32 s10, s3, s5
	s_mul_i32 s5, s3, s5
	s_add_u32 s7, s9, s7
	s_addc_u32 s6, 0, s6
	s_add_u32 s5, s7, s5
	s_addc_u32 s5, s6, s10
	s_addc_u32 s6, s8, 0
	s_add_u32 s4, s5, s4
	s_addc_u32 s5, 0, s6
	s_mul_i32 s7, s4, 9
	s_add_u32 s6, s4, 1
	v_sub_co_u32 v1, s2, s2, s7
	s_mul_hi_u32 s7, s4, 9
	s_addc_u32 s8, s5, 0
	s_mul_i32 s9, s5, 9
	s_delay_alu instid0(VALU_DEP_1)
	v_sub_co_u32 v2, s10, v1, 9
	s_add_u32 s11, s4, 2
	s_addc_u32 s16, s5, 0
	s_add_i32 s7, s7, s9
	s_cmp_lg_u32 s2, 0
	v_readfirstlane_b32 s2, v2
	s_subb_u32 s3, s3, s7
	s_cmp_lg_u32 s10, 0
	s_subb_u32 s7, s3, 0
	s_delay_alu instid0(VALU_DEP_1) | instskip(SKIP_4) | instid1(SALU_CYCLE_1)
	s_cmp_gt_u32 s2, 8
	s_cselect_b32 s2, -1, 0
	s_cmp_eq_u32 s7, 0
	v_readfirstlane_b32 s7, v1
	s_cselect_b32 s2, s2, -1
	s_cmp_lg_u32 s2, 0
	s_cselect_b32 s2, s11, s6
	s_cselect_b32 s6, s16, s8
	s_cmp_gt_u32 s7, 8
	s_cselect_b32 s7, -1, 0
	s_cmp_eq_u32 s3, 0
	s_cselect_b32 s3, s7, -1
	s_delay_alu instid0(SALU_CYCLE_1) | instskip(SKIP_4) | instid1(SALU_CYCLE_1)
	s_cmp_lg_u32 s3, 0
	s_cselect_b32 s2, s2, s4
	s_cselect_b32 s3, s6, s5
	s_add_u32 s22, s2, 1
	s_addc_u32 s23, s3, 0
	v_cmp_lt_u64_e64 s2, s[20:21], s[22:23]
	s_delay_alu instid0(VALU_DEP_1)
	s_and_b32 vcc_lo, exec_lo, s2
	s_cbranch_vccnz .LBB0_2
; %bb.1:
	v_cvt_f32_u32_e32 v1, s22
	s_sub_i32 s3, 0, s22
	s_mov_b32 s25, s21
	s_delay_alu instid0(VALU_DEP_1) | instskip(SKIP_2) | instid1(VALU_DEP_1)
	v_rcp_iflag_f32_e32 v1, v1
	s_waitcnt_depctr 0xfff
	v_mul_f32_e32 v1, 0x4f7ffffe, v1
	v_cvt_u32_f32_e32 v1, v1
	s_delay_alu instid0(VALU_DEP_1) | instskip(NEXT) | instid1(VALU_DEP_1)
	v_readfirstlane_b32 s2, v1
	s_mul_i32 s3, s3, s2
	s_delay_alu instid0(SALU_CYCLE_1) | instskip(NEXT) | instid1(SALU_CYCLE_1)
	s_mul_hi_u32 s3, s2, s3
	s_add_i32 s2, s2, s3
	s_delay_alu instid0(SALU_CYCLE_1) | instskip(NEXT) | instid1(SALU_CYCLE_1)
	s_mul_hi_u32 s2, s20, s2
	s_mul_i32 s3, s2, s22
	s_add_i32 s4, s2, 1
	s_sub_i32 s3, s20, s3
	s_delay_alu instid0(SALU_CYCLE_1)
	s_sub_i32 s5, s3, s22
	s_cmp_ge_u32 s3, s22
	s_cselect_b32 s2, s4, s2
	s_cselect_b32 s3, s5, s3
	s_add_i32 s4, s2, 1
	s_cmp_ge_u32 s3, s22
	s_cselect_b32 s24, s4, s2
.LBB0_2:
	s_load_b128 s[4:7], s[14:15], 0x0
	s_clause 0x2
	s_load_b128 s[8:11], s[0:1], 0x8
	s_load_b64 s[16:17], s[0:1], 0x0
	s_load_b64 s[2:3], s[0:1], 0x58
	s_mul_i32 s0, s24, s23
	s_mul_hi_u32 s1, s24, s22
	s_mul_i32 s26, s24, s22
	s_add_i32 s1, s1, s0
	s_sub_u32 s36, s20, s26
	s_subb_u32 s0, 0, s1
	s_mul_hi_u32 s33, s36, 9
	s_mul_i32 s0, s0, 9
	s_mul_i32 s36, s36, 9
	s_add_i32 s33, s33, s0
	s_waitcnt lgkmcnt(0)
	s_mul_i32 s0, s6, s33
	v_cmp_lt_u64_e64 s26, s[10:11], 3
	s_mul_hi_u32 s1, s6, s36
	s_mul_i32 s38, s6, s36
	s_add_i32 s0, s1, s0
	s_mul_i32 s1, s7, s36
	s_delay_alu instid0(SALU_CYCLE_1)
	s_add_i32 s37, s0, s1
	s_and_b32 vcc_lo, exec_lo, s26
	s_cbranch_vccnz .LBB0_12
; %bb.3:
	s_add_u32 s0, s14, 16
	s_addc_u32 s1, s15, 0
	s_add_u32 s12, s12, 16
	s_addc_u32 s13, s13, 0
	s_mov_b64 s[26:27], 2
	s_mov_b32 s28, 0
.LBB0_4:                                ; =>This Inner Loop Header: Depth=1
	s_load_b64 s[30:31], s[12:13], 0x0
	s_waitcnt lgkmcnt(0)
	s_or_b64 s[34:35], s[24:25], s[30:31]
	s_delay_alu instid0(SALU_CYCLE_1) | instskip(NEXT) | instid1(SALU_CYCLE_1)
	s_mov_b32 s29, s35
                                        ; implicit-def: $sgpr34_sgpr35
	s_cmp_lg_u64 s[28:29], 0
	s_mov_b32 s29, -1
	s_cbranch_scc0 .LBB0_6
; %bb.5:                                ;   in Loop: Header=BB0_4 Depth=1
	v_cvt_f32_u32_e32 v1, s30
	v_cvt_f32_u32_e32 v2, s31
	s_sub_u32 s35, 0, s30
	s_subb_u32 s39, 0, s31
	s_delay_alu instid0(VALU_DEP_1) | instskip(NEXT) | instid1(VALU_DEP_1)
	v_fmac_f32_e32 v1, 0x4f800000, v2
	v_rcp_f32_e32 v1, v1
	s_waitcnt_depctr 0xfff
	v_mul_f32_e32 v1, 0x5f7ffffc, v1
	s_delay_alu instid0(VALU_DEP_1) | instskip(NEXT) | instid1(VALU_DEP_1)
	v_mul_f32_e32 v2, 0x2f800000, v1
	v_trunc_f32_e32 v2, v2
	s_delay_alu instid0(VALU_DEP_1) | instskip(SKIP_1) | instid1(VALU_DEP_2)
	v_fmac_f32_e32 v1, 0xcf800000, v2
	v_cvt_u32_f32_e32 v2, v2
	v_cvt_u32_f32_e32 v1, v1
	s_delay_alu instid0(VALU_DEP_2) | instskip(NEXT) | instid1(VALU_DEP_2)
	v_readfirstlane_b32 s29, v2
	v_readfirstlane_b32 s34, v1
	s_delay_alu instid0(VALU_DEP_2) | instskip(NEXT) | instid1(VALU_DEP_1)
	s_mul_i32 s40, s35, s29
	s_mul_hi_u32 s42, s35, s34
	s_mul_i32 s41, s39, s34
	s_add_i32 s40, s42, s40
	s_mul_i32 s43, s35, s34
	s_add_i32 s40, s40, s41
	s_mul_hi_u32 s42, s34, s43
	s_mul_hi_u32 s44, s29, s43
	s_mul_i32 s41, s29, s43
	s_mul_hi_u32 s43, s34, s40
	s_mul_i32 s34, s34, s40
	s_mul_hi_u32 s45, s29, s40
	s_add_u32 s34, s42, s34
	s_addc_u32 s42, 0, s43
	s_add_u32 s34, s34, s41
	s_mul_i32 s40, s29, s40
	s_addc_u32 s34, s42, s44
	s_addc_u32 s41, s45, 0
	s_add_u32 s34, s34, s40
	s_addc_u32 s40, 0, s41
	v_add_co_u32 v1, s34, v1, s34
	s_delay_alu instid0(VALU_DEP_1) | instskip(SKIP_1) | instid1(VALU_DEP_1)
	s_cmp_lg_u32 s34, 0
	s_addc_u32 s29, s29, s40
	v_readfirstlane_b32 s34, v1
	s_mul_i32 s40, s35, s29
	s_delay_alu instid0(VALU_DEP_1)
	s_mul_hi_u32 s41, s35, s34
	s_mul_i32 s39, s39, s34
	s_add_i32 s40, s41, s40
	s_mul_i32 s35, s35, s34
	s_add_i32 s40, s40, s39
	s_mul_hi_u32 s41, s29, s35
	s_mul_i32 s42, s29, s35
	s_mul_hi_u32 s35, s34, s35
	s_mul_hi_u32 s43, s34, s40
	s_mul_i32 s34, s34, s40
	s_mul_hi_u32 s39, s29, s40
	s_add_u32 s34, s35, s34
	s_addc_u32 s35, 0, s43
	s_add_u32 s34, s34, s42
	s_mul_i32 s40, s29, s40
	s_addc_u32 s34, s35, s41
	s_addc_u32 s35, s39, 0
	s_add_u32 s34, s34, s40
	s_addc_u32 s35, 0, s35
	v_add_co_u32 v1, s34, v1, s34
	s_delay_alu instid0(VALU_DEP_1) | instskip(SKIP_1) | instid1(VALU_DEP_1)
	s_cmp_lg_u32 s34, 0
	s_addc_u32 s29, s29, s35
	v_readfirstlane_b32 s34, v1
	s_mul_i32 s39, s24, s29
	s_mul_hi_u32 s35, s24, s29
	s_mul_hi_u32 s40, s25, s29
	s_mul_i32 s29, s25, s29
	s_mul_hi_u32 s41, s24, s34
	s_mul_hi_u32 s42, s25, s34
	s_mul_i32 s34, s25, s34
	s_add_u32 s39, s41, s39
	s_addc_u32 s35, 0, s35
	s_add_u32 s34, s39, s34
	s_addc_u32 s34, s35, s42
	s_addc_u32 s35, s40, 0
	s_add_u32 s34, s34, s29
	s_addc_u32 s35, 0, s35
	s_mul_hi_u32 s29, s30, s34
	s_mul_i32 s40, s30, s35
	s_mul_i32 s41, s30, s34
	s_add_i32 s29, s29, s40
	v_sub_co_u32 v1, s40, s24, s41
	s_mul_i32 s39, s31, s34
	s_delay_alu instid0(SALU_CYCLE_1) | instskip(NEXT) | instid1(VALU_DEP_1)
	s_add_i32 s29, s29, s39
	v_sub_co_u32 v2, s41, v1, s30
	s_sub_i32 s39, s25, s29
	s_cmp_lg_u32 s40, 0
	s_subb_u32 s39, s39, s31
	s_cmp_lg_u32 s41, 0
	v_readfirstlane_b32 s41, v2
	s_subb_u32 s39, s39, 0
	s_delay_alu instid0(SALU_CYCLE_1) | instskip(SKIP_1) | instid1(VALU_DEP_1)
	s_cmp_ge_u32 s39, s31
	s_cselect_b32 s42, -1, 0
	s_cmp_ge_u32 s41, s30
	s_cselect_b32 s41, -1, 0
	s_cmp_eq_u32 s39, s31
	s_cselect_b32 s39, s41, s42
	s_add_u32 s41, s34, 1
	s_addc_u32 s42, s35, 0
	s_add_u32 s43, s34, 2
	s_addc_u32 s44, s35, 0
	s_cmp_lg_u32 s39, 0
	s_cselect_b32 s39, s43, s41
	s_cselect_b32 s41, s44, s42
	s_cmp_lg_u32 s40, 0
	v_readfirstlane_b32 s40, v1
	s_subb_u32 s29, s25, s29
	s_delay_alu instid0(SALU_CYCLE_1) | instskip(SKIP_1) | instid1(VALU_DEP_1)
	s_cmp_ge_u32 s29, s31
	s_cselect_b32 s42, -1, 0
	s_cmp_ge_u32 s40, s30
	s_cselect_b32 s40, -1, 0
	s_cmp_eq_u32 s29, s31
	s_cselect_b32 s29, s40, s42
	s_delay_alu instid0(SALU_CYCLE_1)
	s_cmp_lg_u32 s29, 0
	s_mov_b32 s29, 0
	s_cselect_b32 s35, s41, s35
	s_cselect_b32 s34, s39, s34
.LBB0_6:                                ;   in Loop: Header=BB0_4 Depth=1
	s_and_not1_b32 vcc_lo, exec_lo, s29
	s_cbranch_vccnz .LBB0_8
; %bb.7:                                ;   in Loop: Header=BB0_4 Depth=1
	v_cvt_f32_u32_e32 v1, s30
	s_sub_i32 s34, 0, s30
	s_waitcnt_depctr 0xfff
	v_rcp_iflag_f32_e32 v1, v1
	s_waitcnt_depctr 0xfff
	v_mul_f32_e32 v1, 0x4f7ffffe, v1
	s_delay_alu instid0(VALU_DEP_1) | instskip(NEXT) | instid1(VALU_DEP_1)
	v_cvt_u32_f32_e32 v1, v1
	v_readfirstlane_b32 s29, v1
	s_delay_alu instid0(VALU_DEP_1) | instskip(NEXT) | instid1(SALU_CYCLE_1)
	s_mul_i32 s34, s34, s29
	s_mul_hi_u32 s34, s29, s34
	s_delay_alu instid0(SALU_CYCLE_1) | instskip(NEXT) | instid1(SALU_CYCLE_1)
	s_add_i32 s29, s29, s34
	s_mul_hi_u32 s29, s24, s29
	s_delay_alu instid0(SALU_CYCLE_1) | instskip(SKIP_2) | instid1(SALU_CYCLE_1)
	s_mul_i32 s34, s29, s30
	s_add_i32 s35, s29, 1
	s_sub_i32 s34, s24, s34
	s_sub_i32 s39, s34, s30
	s_cmp_ge_u32 s34, s30
	s_cselect_b32 s29, s35, s29
	s_cselect_b32 s34, s39, s34
	s_add_i32 s35, s29, 1
	s_cmp_ge_u32 s34, s30
	s_cselect_b32 s34, s35, s29
	s_mov_b32 s35, s28
.LBB0_8:                                ;   in Loop: Header=BB0_4 Depth=1
	s_load_b64 s[40:41], s[0:1], 0x0
	s_mul_i32 s23, s30, s23
	s_mul_hi_u32 s29, s30, s22
	s_mul_i32 s39, s31, s22
	s_mul_i32 s31, s34, s31
	s_mul_hi_u32 s42, s34, s30
	s_mul_i32 s43, s35, s30
	s_add_i32 s23, s29, s23
	s_add_i32 s29, s42, s31
	s_mul_i32 s44, s34, s30
	s_add_i32 s23, s23, s39
	s_add_i32 s29, s29, s43
	s_sub_u32 s24, s24, s44
	s_subb_u32 s25, s25, s29
	s_mul_i32 s22, s30, s22
	s_waitcnt lgkmcnt(0)
	s_mul_i32 s25, s40, s25
	s_mul_hi_u32 s29, s40, s24
	s_delay_alu instid0(SALU_CYCLE_1)
	s_add_i32 s25, s29, s25
	s_mul_i32 s29, s41, s24
	s_mul_i32 s24, s40, s24
	s_add_i32 s25, s25, s29
	s_add_u32 s38, s24, s38
	s_addc_u32 s37, s25, s37
	s_add_u32 s26, s26, 1
	s_addc_u32 s27, s27, 0
	s_add_u32 s0, s0, 8
	v_cmp_ge_u64_e64 s24, s[26:27], s[10:11]
	s_addc_u32 s1, s1, 0
	s_add_u32 s12, s12, 8
	s_addc_u32 s13, s13, 0
	s_delay_alu instid0(VALU_DEP_1)
	s_and_b32 vcc_lo, exec_lo, s24
	s_cbranch_vccnz .LBB0_10
; %bb.9:                                ;   in Loop: Header=BB0_4 Depth=1
	s_mov_b64 s[24:25], s[34:35]
	s_branch .LBB0_4
.LBB0_10:
	v_cmp_lt_u64_e64 s0, s[20:21], s[22:23]
	s_mov_b64 s[24:25], 0
	s_delay_alu instid0(VALU_DEP_1)
	s_and_b32 vcc_lo, exec_lo, s0
	s_cbranch_vccnz .LBB0_12
; %bb.11:
	v_cvt_f32_u32_e32 v1, s22
	s_sub_i32 s1, 0, s22
	s_delay_alu instid0(VALU_DEP_1) | instskip(SKIP_2) | instid1(VALU_DEP_1)
	v_rcp_iflag_f32_e32 v1, v1
	s_waitcnt_depctr 0xfff
	v_mul_f32_e32 v1, 0x4f7ffffe, v1
	v_cvt_u32_f32_e32 v1, v1
	s_delay_alu instid0(VALU_DEP_1) | instskip(NEXT) | instid1(VALU_DEP_1)
	v_readfirstlane_b32 s0, v1
	s_mul_i32 s1, s1, s0
	s_delay_alu instid0(SALU_CYCLE_1) | instskip(NEXT) | instid1(SALU_CYCLE_1)
	s_mul_hi_u32 s1, s0, s1
	s_add_i32 s0, s0, s1
	s_delay_alu instid0(SALU_CYCLE_1) | instskip(NEXT) | instid1(SALU_CYCLE_1)
	s_mul_hi_u32 s0, s20, s0
	s_mul_i32 s1, s0, s22
	s_add_i32 s12, s0, 1
	s_sub_i32 s1, s20, s1
	s_delay_alu instid0(SALU_CYCLE_1)
	s_sub_i32 s13, s1, s22
	s_cmp_ge_u32 s1, s22
	s_cselect_b32 s0, s12, s0
	s_cselect_b32 s1, s13, s1
	s_add_i32 s12, s0, 1
	s_cmp_ge_u32 s1, s22
	s_cselect_b32 s24, s12, s0
.LBB0_12:
	s_lshl_b64 s[0:1], s[10:11], 3
	v_mul_u32_u24_e32 v1, 0x1c72, v0
	s_add_u32 s0, s14, s0
	s_addc_u32 s1, s15, s1
                                        ; implicit-def: $vgpr10
                                        ; implicit-def: $vgpr8
                                        ; implicit-def: $vgpr6
                                        ; implicit-def: $vgpr2
                                        ; implicit-def: $vgpr3
                                        ; implicit-def: $vgpr7
                                        ; implicit-def: $vgpr9
                                        ; implicit-def: $vgpr11
                                        ; implicit-def: $vgpr13
                                        ; implicit-def: $vgpr14
                                        ; implicit-def: $vgpr12
                                        ; implicit-def: $vgpr4
	s_load_b64 s[0:1], s[0:1], 0x0
	s_delay_alu instid0(VALU_DEP_1) | instskip(NEXT) | instid1(VALU_DEP_1)
	v_lshrrev_b32_e32 v32, 16, v1
	v_mul_lo_u16 v1, v32, 9
	s_delay_alu instid0(VALU_DEP_1) | instskip(NEXT) | instid1(VALU_DEP_1)
	v_sub_nc_u16 v1, v0, v1
	v_and_b32_e32 v33, 0xffff, v1
                                        ; implicit-def: $vgpr1
	s_waitcnt lgkmcnt(0)
	s_mul_i32 s1, s1, s24
	s_mul_hi_u32 s10, s0, s24
	s_mul_i32 s0, s0, s24
	v_add_co_u32 v15, s11, s36, v33
	s_add_i32 s1, s10, s1
	v_add_co_ci_u32_e64 v16, null, s33, 0, s11
	s_add_u32 s10, s0, s38
	s_addc_u32 s11, s1, s37
	s_add_u32 s0, s36, 9
	s_addc_u32 s1, s33, 0
	v_cmp_gt_u64_e32 vcc_lo, s[18:19], v[15:16]
	v_cmp_le_u64_e64 s12, s[0:1], s[18:19]
	s_delay_alu instid0(VALU_DEP_1) | instskip(NEXT) | instid1(SALU_CYCLE_1)
	s_or_b32 s0, s12, vcc_lo
	s_and_saveexec_b32 s1, s0
	s_cbranch_execz .LBB0_14
; %bb.13:
	v_add_nc_u32_e32 v11, 16, v32
	v_mad_u64_u32 v[1:2], null, s6, v33, 0
	v_mad_u64_u32 v[3:4], null, s4, v32, 0
	s_delay_alu instid0(VALU_DEP_3) | instskip(SKIP_4) | instid1(VALU_DEP_4)
	v_mad_u64_u32 v[5:6], null, s4, v11, 0
	v_or_b32_e32 v12, 32, v32
	s_lshl_b64 s[14:15], s[10:11], 2
	v_or_b32_e32 v16, 64, v32
	s_add_u32 s0, s2, s14
	v_mad_u64_u32 v[7:8], null, s7, v33, v[2:3]
	s_delay_alu instid0(VALU_DEP_4) | instskip(SKIP_2) | instid1(VALU_DEP_4)
	v_mad_u64_u32 v[8:9], null, s5, v32, v[4:5]
	v_mov_b32_e32 v4, v6
	v_mad_u64_u32 v[9:10], null, s4, v12, 0
	v_dual_mov_b32 v2, v7 :: v_dual_add_nc_u32 v13, 48, v32
	s_delay_alu instid0(VALU_DEP_3) | instskip(SKIP_2) | instid1(VALU_DEP_4)
	v_mad_u64_u32 v[6:7], null, s5, v11, v[4:5]
	v_mov_b32_e32 v4, v8
	s_addc_u32 s13, s3, s15
	v_mov_b32_e32 v7, v10
	v_lshlrev_b64 v[1:2], 2, v[1:2]
	v_or_b32_e32 v23, 0x60, v32
	v_lshlrev_b64 v[3:4], 2, v[3:4]
	v_add_nc_u32_e32 v24, 0x70, v32
	v_mad_u64_u32 v[10:11], null, s5, v12, v[7:8]
	v_add_co_u32 v38, s0, s0, v1
	s_delay_alu instid0(VALU_DEP_1)
	v_add_co_ci_u32_e64 v39, s0, s13, v2, s0
	v_mad_u64_u32 v[1:2], null, s4, v13, 0
	v_mad_u64_u32 v[7:8], null, s4, v16, 0
	v_lshlrev_b64 v[9:10], 2, v[9:10]
	v_add_co_u32 v3, s0, v38, v3
	v_lshlrev_b64 v[5:6], 2, v[5:6]
	v_mad_u64_u32 v[19:20], null, s4, v24, 0
	s_delay_alu instid0(VALU_DEP_3) | instskip(SKIP_3) | instid1(VALU_DEP_4)
	v_mad_u64_u32 v[11:12], null, s5, v13, v[2:3]
	v_mad_u64_u32 v[13:14], null, s5, v16, v[8:9]
	v_add_co_ci_u32_e64 v4, s0, v39, v4, s0
	v_add_co_u32 v5, s0, v38, v5
	v_mov_b32_e32 v2, v11
	v_add_co_ci_u32_e64 v6, s0, v39, v6, s0
	v_mov_b32_e32 v8, v13
	v_mad_u64_u32 v[13:14], null, s4, v23, 0
	v_add_nc_u32_e32 v18, 0x50, v32
	v_lshlrev_b64 v[1:2], 2, v[1:2]
	v_add_co_u32 v9, s0, v38, v9
	s_delay_alu instid0(VALU_DEP_1) | instskip(NEXT) | instid1(VALU_DEP_4)
	v_add_co_ci_u32_e64 v10, s0, v39, v10, s0
	v_mad_u64_u32 v[11:12], null, s4, v18, 0
	v_add_nc_u32_e32 v30, 0x90, v32
	v_or_b32_e32 v31, 0xa0, v32
	v_or_b32_e32 v36, 0xc0, v32
	s_delay_alu instid0(VALU_DEP_4) | instskip(SKIP_1) | instid1(VALU_DEP_1)
	v_mad_u64_u32 v[16:17], null, s5, v18, v[12:13]
	v_add_co_u32 v17, s0, v38, v1
	v_add_co_ci_u32_e64 v18, s0, v39, v2, s0
	v_lshlrev_b64 v[1:2], 2, v[7:8]
	s_delay_alu instid0(VALU_DEP_4) | instskip(SKIP_1) | instid1(VALU_DEP_2)
	v_dual_mov_b32 v7, v14 :: v_dual_mov_b32 v12, v16
	v_or_b32_e32 v16, 0x80, v32
	v_mad_u64_u32 v[21:22], null, s5, v23, v[7:8]
	s_delay_alu instid0(VALU_DEP_4) | instskip(SKIP_2) | instid1(VALU_DEP_4)
	v_add_co_u32 v7, s0, v38, v1
	v_mov_b32_e32 v1, v20
	v_add_co_ci_u32_e64 v8, s0, v39, v2, s0
	v_mov_b32_e32 v14, v21
	s_delay_alu instid0(VALU_DEP_3) | instskip(SKIP_1) | instid1(VALU_DEP_2)
	v_mad_u64_u32 v[20:21], null, s5, v24, v[1:2]
	v_mad_u64_u32 v[1:2], null, s4, v16, 0
	v_lshlrev_b64 v[19:20], 2, v[19:20]
	s_delay_alu instid0(VALU_DEP_2) | instskip(SKIP_1) | instid1(VALU_DEP_2)
	v_mad_u64_u32 v[23:24], null, s5, v16, v[2:3]
	v_mad_u64_u32 v[24:25], null, s4, v31, 0
	v_dual_mov_b32 v2, v23 :: v_dual_add_nc_u32 v23, 0xb0, v32
	v_lshlrev_b64 v[11:12], 2, v[11:12]
	s_delay_alu instid0(VALU_DEP_2) | instskip(NEXT) | instid1(VALU_DEP_2)
	v_lshlrev_b64 v[1:2], 2, v[1:2]
	v_add_co_u32 v21, s0, v38, v11
	s_delay_alu instid0(VALU_DEP_1) | instskip(SKIP_2) | instid1(VALU_DEP_2)
	v_add_co_ci_u32_e64 v22, s0, v39, v12, s0
	v_lshlrev_b64 v[11:12], 2, v[13:14]
	v_mad_u64_u32 v[13:14], null, s4, v30, 0
	v_add_co_u32 v26, s0, v38, v11
	s_delay_alu instid0(VALU_DEP_1) | instskip(NEXT) | instid1(VALU_DEP_3)
	v_add_co_ci_u32_e64 v27, s0, v39, v12, s0
	v_mov_b32_e32 v11, v14
	v_add_co_u32 v19, s0, v38, v19
	s_delay_alu instid0(VALU_DEP_1) | instskip(NEXT) | instid1(VALU_DEP_3)
	v_add_co_ci_u32_e64 v20, s0, v39, v20, s0
	v_mad_u64_u32 v[28:29], null, s5, v30, v[11:12]
	v_mov_b32_e32 v11, v25
	v_mad_u64_u32 v[29:30], null, s4, v23, 0
	s_delay_alu instid0(VALU_DEP_2) | instskip(SKIP_2) | instid1(VALU_DEP_4)
	v_mad_u64_u32 v[34:35], null, s5, v31, v[11:12]
	v_mad_u64_u32 v[11:12], null, s4, v36, 0
	v_mov_b32_e32 v14, v28
	v_mov_b32_e32 v16, v30
	s_delay_alu instid0(VALU_DEP_4) | instskip(SKIP_1) | instid1(VALU_DEP_1)
	v_mov_b32_e32 v25, v34
	v_add_co_u32 v34, s0, v38, v1
	v_add_co_ci_u32_e64 v35, s0, v39, v2, s0
	v_lshlrev_b64 v[1:2], 2, v[13:14]
	v_mad_u64_u32 v[13:14], null, s5, v36, v[12:13]
	v_mad_u64_u32 v[30:31], null, s5, v23, v[16:17]
	v_lshlrev_b64 v[23:24], 2, v[24:25]
	s_delay_alu instid0(VALU_DEP_4) | instskip(NEXT) | instid1(VALU_DEP_1)
	v_add_co_u32 v36, s0, v38, v1
	v_add_co_ci_u32_e64 v37, s0, v39, v2, s0
	v_mov_b32_e32 v12, v13
	v_lshlrev_b64 v[1:2], 2, v[29:30]
	v_add_co_u32 v13, s0, v38, v23
	s_delay_alu instid0(VALU_DEP_1) | instskip(NEXT) | instid1(VALU_DEP_4)
	v_add_co_ci_u32_e64 v14, s0, v39, v24, s0
	v_lshlrev_b64 v[11:12], 2, v[11:12]
	s_delay_alu instid0(VALU_DEP_4) | instskip(NEXT) | instid1(VALU_DEP_1)
	v_add_co_u32 v23, s0, v38, v1
	v_add_co_ci_u32_e64 v24, s0, v39, v2, s0
	s_delay_alu instid0(VALU_DEP_3) | instskip(NEXT) | instid1(VALU_DEP_1)
	v_add_co_u32 v28, s0, v38, v11
	v_add_co_ci_u32_e64 v29, s0, v39, v12, s0
	s_clause 0xc
	global_load_b32 v1, v[3:4], off
	global_load_b32 v4, v[5:6], off
	;; [unrolled: 1-line block ×13, first 2 shown]
.LBB0_14:
	s_or_b32 exec_lo, exec_lo, s1
	s_waitcnt vmcnt(11)
	v_pk_add_f16 v5, v1, v4
	s_waitcnt vmcnt(0)
	v_pk_add_f16 v17, v4, v14
	v_pk_add_f16 v18, v4, v14 neg_lo:[0,1] neg_hi:[0,1]
	v_lshrrev_b32_e32 v4, 16, v1
	v_cmp_gt_u32_e64 s0, 0x75, v0
	v_pk_add_f16 v5, v5, v12
	v_mul_f16_e32 v16, 0x3b15, v17
	v_lshrrev_b32_e32 v19, 16, v18
	v_pk_mul_f16 v27, 0xb94ebb7b, v18
	v_mul_f16_e32 v26, 0xb5ac, v17
	v_pk_add_f16 v5, v5, v10
	v_lshrrev_b32_e32 v20, 16, v17
	v_fmamk_f16 v29, v19, 0x3770, v16
	v_fmac_f16_e32 v16, 0xb770, v19
	v_pk_fma_f16 v38, 0xb5acb9fd, v17, v27 op_sel:[0,0,1] op_sel_hi:[1,1,0]
	v_pk_add_f16 v5, v5, v8
	v_fmamk_f16 v37, v19, 0x3b7b, v26
	v_mul_f16_e32 v21, 0xb770, v18
	v_add_f16_e32 v40, v1, v16
	v_mul_f16_e32 v22, 0x388b, v17
	v_pk_add_f16 v5, v5, v6
	v_mul_f16_e32 v23, 0xba95, v18
	v_mul_f16_e32 v24, 0x2fb7, v17
	;; [unrolled: 1-line block ×4, first 2 shown]
	v_pk_add_f16 v5, v5, v2
	v_mul_f16_e32 v18, 0xb3a8, v18
	v_fmamk_f16 v30, v20, 0x3b15, v21
	v_fma_f16 v21, v20, 0x3b15, -v21
	v_fmamk_f16 v31, v19, 0x3a95, v22
	v_pk_add_f16 v5, v5, v3
	v_fmamk_f16 v34, v20, 0x388b, v23
	v_fmac_f16_e32 v22, 0xba95, v19
	v_fma_f16 v23, v20, 0x388b, -v23
	v_fmamk_f16 v35, v19, 0x3bf1, v24
	v_pk_add_f16 v39, v5, v7
	v_pk_fma_f16 v5, 0xb5acb9fd, v17, v27 op_sel:[0,0,1] op_sel_hi:[1,1,0] neg_lo:[0,0,1] neg_hi:[0,0,1]
	v_mul_f16_e32 v17, 0xbbc4, v17
	v_fmamk_f16 v36, v20, 0x2fb7, v25
	v_fmac_f16_e32 v24, 0xbbf1, v19
	v_pk_add_f16 v39, v39, v9
	v_fma_f16 v25, v20, 0x2fb7, -v25
	v_fmac_f16_e32 v26, 0xbb7b, v19
	v_fmamk_f16 v27, v20, 0xb9fd, v28
	v_add_f16_e32 v29, v1, v29
	v_pk_add_f16 v16, v39, v11
	v_bfi_b32 v39, 0xffff, v38, v5
	v_fma_f16 v28, v20, 0xb9fd, -v28
	v_fmamk_f16 v41, v20, 0xbbc4, v18
	v_fma_f16 v18, v20, 0xbbc4, -v18
	v_pk_add_f16 v16, v16, v13
	v_add_f16_e32 v30, v4, v30
	v_add_f16_e32 v21, v4, v21
	;; [unrolled: 1-line block ×4, first 2 shown]
	v_pk_add_f16 v16, v16, v14
	v_add_f16_e32 v14, v1, v37
	v_pk_add_f16 v37, v1, v39
	v_pk_add_f16 v39, v12, v13
	v_pk_add_f16 v12, v12, v13 neg_lo:[0,1] neg_hi:[0,1]
	v_fmamk_f16 v13, v19, 0x33a8, v17
	v_fmac_f16_e32 v17, 0xb3a8, v19
	v_add_f16_e32 v23, v4, v23
	v_mul_f16_e32 v42, 0x388b, v39
	v_lshrrev_b32_e32 v43, 16, v12
	v_lshrrev_b32_e32 v20, 16, v39
	v_mul_f16_e32 v44, 0xba95, v12
	v_mul_f16_e32 v46, 0xbb7b, v12
	v_add_f16_e32 v35, v1, v35
	v_fmamk_f16 v19, v43, 0x3a95, v42
	v_fmac_f16_e32 v42, 0xba95, v43
	v_fmamk_f16 v45, v20, 0x388b, v44
	v_fma_f16 v44, v20, 0x388b, -v44
	v_add_f16_e32 v36, v4, v36
	v_add_f16_e32 v19, v19, v29
	v_mul_f16_e32 v29, 0xb5ac, v39
	v_add_f16_e32 v40, v42, v40
	v_fmamk_f16 v42, v20, 0xb5ac, v46
	v_add_f16_e32 v30, v45, v30
	v_add_f16_e32 v21, v44, v21
	v_fmamk_f16 v47, v43, 0x3b7b, v29
	v_fmac_f16_e32 v29, 0xbb7b, v43
	v_mul_f16_e32 v44, 0xbbc4, v39
	v_mul_f16_e32 v45, 0xb3a8, v12
	v_add_f16_e32 v34, v42, v34
	v_fma_f16 v42, v20, 0xb5ac, -v46
	v_add_f16_e32 v24, v1, v24
	v_add_f16_e32 v22, v29, v22
	v_fmamk_f16 v29, v43, 0x33a8, v44
	v_fmamk_f16 v46, v20, 0xbbc4, v45
	v_fmac_f16_e32 v44, 0xb3a8, v43
	v_add_f16_e32 v23, v42, v23
	v_pk_mul_f16 v42, 0x3bf1394e, v12
	v_add_f16_e32 v31, v1, v31
	v_add_f16_e32 v29, v29, v35
	;; [unrolled: 1-line block ×4, first 2 shown]
	v_mul_f16_e32 v36, 0xb9fd, v39
	v_pk_fma_f16 v44, 0xb9fd2fb7, v39, v42 op_sel:[0,0,1] op_sel_hi:[1,1,0]
	v_pk_fma_f16 v42, 0xb9fd2fb7, v39, v42 op_sel:[0,0,1] op_sel_hi:[1,1,0] neg_lo:[0,0,1] neg_hi:[0,0,1]
	v_add_f16_e32 v25, v4, v25
	v_add_f16_e32 v26, v1, v26
	;; [unrolled: 1-line block ×3, first 2 shown]
	v_mul_f16_e32 v46, 0x3bf1, v12
	v_fma_f16 v45, v20, 0xbbc4, -v45
	v_fmamk_f16 v47, v43, 0xb94e, v36
	v_fmac_f16_e32 v36, 0x394e, v43
	v_bfi_b32 v49, 0xffff, v44, v42
	v_add_f16_e32 v28, v4, v28
	v_add_f16_e32 v25, v45, v25
	v_mul_f16_e32 v12, 0x3770, v12
	v_add_f16_e32 v26, v36, v26
	v_pk_add_f16 v36, v49, v37
	v_mul_f16_e32 v37, 0x3b15, v39
	v_fma_f16 v39, v20, 0x2fb7, -v46
	v_pk_add_f16 v45, v10, v11
	v_pk_add_f16 v10, v10, v11 neg_lo:[0,1] neg_hi:[0,1]
	v_add_f16_e32 v13, v1, v13
	v_add_f16_e32 v41, v4, v41
	v_fmamk_f16 v48, v20, 0x2fb7, v46
	v_add_f16_e32 v14, v47, v14
	v_fmamk_f16 v11, v43, 0xb770, v37
	v_fmamk_f16 v46, v20, 0x3b15, v12
	v_add_f16_e32 v28, v39, v28
	v_mul_f16_e32 v39, 0x2fb7, v45
	v_lshrrev_b32_e32 v47, 16, v10
	v_add_f16_e32 v17, v1, v17
	v_add_f16_e32 v18, v4, v18
	v_add_f16_e32 v11, v11, v13
	v_add_f16_e32 v13, v46, v41
	v_fmac_f16_e32 v37, 0x3770, v43
	v_fma_f16 v12, v20, 0x3b15, -v12
	v_fmamk_f16 v20, v47, 0x3bf1, v39
	v_lshrrev_b32_e32 v41, 16, v45
	v_mul_f16_e32 v43, 0xbbf1, v10
	v_add_f16_e32 v17, v37, v17
	v_add_f16_e32 v12, v12, v18
	;; [unrolled: 1-line block ×3, first 2 shown]
	v_mul_f16_e32 v19, 0xbbc4, v45
	v_fmamk_f16 v20, v41, 0x2fb7, v43
	v_fma_f16 v37, v41, 0x2fb7, -v43
	v_mul_f16_e32 v43, 0xb3a8, v10
	v_fmac_f16_e32 v39, 0xbbf1, v47
	v_fmamk_f16 v46, v47, 0x33a8, v19
	v_add_f16_e32 v20, v20, v30
	v_add_f16_e32 v21, v37, v21
	v_fmamk_f16 v37, v41, 0xbbc4, v43
	v_add_f16_e32 v30, v39, v40
	v_fmac_f16_e32 v19, 0xb3a8, v47
	v_mul_f16_e32 v39, 0xb5ac, v45
	v_mul_f16_e32 v40, 0x3b7b, v10
	v_add_f16_e32 v34, v37, v34
	v_fma_f16 v37, v41, 0xbbc4, -v43
	v_add_f16_e32 v19, v19, v22
	v_fmamk_f16 v22, v47, 0xbb7b, v39
	v_fmamk_f16 v43, v41, 0xb5ac, v40
	v_fmac_f16_e32 v39, 0x3b7b, v47
	v_add_f16_e32 v23, v37, v23
	v_pk_mul_f16 v37, 0xba953770, v10
	v_add_f16_e32 v31, v46, v31
	v_add_f16_e32 v22, v22, v29
	;; [unrolled: 1-line block ×4, first 2 shown]
	v_mul_f16_e32 v35, 0x3b15, v45
	v_pk_fma_f16 v39, 0x3b15388b, v45, v37 op_sel:[0,0,1] op_sel_hi:[1,1,0]
	v_pk_fma_f16 v46, 0x3b15388b, v45, v37 op_sel:[0,0,1] op_sel_hi:[1,1,0] neg_lo:[0,0,1] neg_hi:[0,0,1]
	v_mul_f16_e32 v43, 0xba95, v10
	v_fma_f16 v37, v41, 0xb5ac, -v40
	v_fmamk_f16 v40, v47, 0xb770, v35
	v_fmac_f16_e32 v35, 0x3770, v47
	v_bfi_b32 v49, 0xffff, v39, v46
	v_add_f16_e32 v27, v4, v27
	v_add_f16_e32 v25, v37, v25
	;; [unrolled: 1-line block ×4, first 2 shown]
	v_pk_add_f16 v35, v49, v36
	v_mul_f16_e32 v36, 0xb9fd, v45
	v_mul_f16_e32 v10, 0xb94e, v10
	v_fma_f16 v37, v41, 0x388b, -v43
	v_pk_add_f16 v40, v8, v9
	v_pk_add_f16 v8, v8, v9 neg_lo:[0,1] neg_hi:[0,1]
	v_add_f16_e32 v27, v48, v27
	v_fmamk_f16 v48, v41, 0x388b, v43
	v_fmamk_f16 v9, v47, 0x394e, v36
	;; [unrolled: 1-line block ×3, first 2 shown]
	v_add_f16_e32 v28, v37, v28
	v_mul_f16_e32 v37, 0xb5ac, v40
	v_lshrrev_b32_e32 v45, 16, v8
	v_add_f16_e32 v9, v9, v11
	v_add_f16_e32 v11, v43, v13
	v_fmac_f16_e32 v36, 0xb94e, v47
	v_fma_f16 v10, v41, 0xb9fd, -v10
	v_fmamk_f16 v13, v45, 0x3b7b, v37
	v_lshrrev_b32_e32 v41, 16, v40
	v_mul_f16_e32 v43, 0xbb7b, v8
	v_add_f16_e32 v17, v36, v17
	v_add_f16_e32 v10, v10, v12
	;; [unrolled: 1-line block ×3, first 2 shown]
	v_fmac_f16_e32 v37, 0xbb7b, v45
	v_fmamk_f16 v18, v41, 0xb5ac, v43
	v_fma_f16 v36, v41, 0xb5ac, -v43
	v_mul_f16_e32 v43, 0x394e, v8
	v_mul_f16_e32 v13, 0xb9fd, v40
	v_add_f16_e32 v27, v48, v27
	v_add_f16_e32 v18, v18, v20
	;; [unrolled: 1-line block ×3, first 2 shown]
	v_fmamk_f16 v30, v41, 0xb9fd, v43
	v_fmamk_f16 v47, v45, 0xb94e, v13
	v_add_f16_e32 v21, v36, v21
	v_fmac_f16_e32 v13, 0x394e, v45
	v_mul_f16_e32 v36, 0x3b15, v40
	v_mul_f16_e32 v37, 0x3770, v8
	v_add_f16_e32 v30, v30, v34
	v_fma_f16 v34, v41, 0xb9fd, -v43
	v_add_f16_e32 v13, v13, v19
	v_fmamk_f16 v19, v45, 0xb770, v36
	v_fmamk_f16 v43, v41, 0x3b15, v37
	v_add_f16_e32 v31, v47, v31
	v_add_f16_e32 v23, v34, v23
	v_pk_mul_f16 v34, 0x33a8bbf1, v8
	v_fmac_f16_e32 v36, 0x3770, v45
	v_add_f16_e32 v19, v19, v22
	v_add_f16_e32 v22, v43, v29
	v_mul_f16_e32 v29, 0x2fb7, v40
	v_pk_fma_f16 v43, 0x2fb7bbc4, v40, v34 op_sel:[0,0,1] op_sel_hi:[1,1,0]
	v_pk_fma_f16 v47, 0x2fb7bbc4, v40, v34 op_sel:[0,0,1] op_sel_hi:[1,1,0] neg_lo:[0,0,1] neg_hi:[0,0,1]
	v_add_f16_e32 v24, v36, v24
	v_mul_f16_e32 v36, 0x33a8, v8
	v_fma_f16 v34, v41, 0x3b15, -v37
	v_fmamk_f16 v37, v45, 0x3bf1, v29
	v_fmac_f16_e32 v29, 0xbbf1, v45
	v_bfi_b32 v49, 0xffff, v43, v47
	v_fmamk_f16 v48, v41, 0xbbc4, v36
	v_add_f16_e32 v25, v34, v25
	v_mul_f16_e32 v34, 0x388b, v40
	v_add_f16_e32 v26, v29, v26
	v_pk_add_f16 v29, v49, v35
	v_mul_f16_e32 v8, 0x3a95, v8
	v_fma_f16 v35, v41, 0xbbc4, -v36
	v_pk_add_f16 v36, v6, v7
	v_pk_add_f16 v6, v6, v7 neg_lo:[0,1] neg_hi:[0,1]
	v_add_f16_e32 v14, v37, v14
	v_fmamk_f16 v7, v45, 0xba95, v34
	v_fmamk_f16 v37, v41, 0x388b, v8
	v_add_f16_e32 v28, v35, v28
	v_mul_f16_e32 v35, 0xb9fd, v36
	v_lshrrev_b32_e32 v40, 16, v6
	v_add_f16_e32 v7, v7, v9
	v_add_f16_e32 v9, v37, v11
	v_fmac_f16_e32 v34, 0x3a95, v45
	v_fma_f16 v8, v41, 0x388b, -v8
	v_fmamk_f16 v11, v40, 0x394e, v35
	v_lshrrev_b32_e32 v37, 16, v36
	v_mul_f16_e32 v41, 0xb94e, v6
	v_add_f16_e32 v17, v34, v17
	v_add_f16_e32 v8, v8, v10
	;; [unrolled: 1-line block ×3, first 2 shown]
	v_fmac_f16_e32 v35, 0xb94e, v40
	v_fmamk_f16 v12, v37, 0xb9fd, v41
	v_fma_f16 v34, v37, 0xb9fd, -v41
	v_mul_f16_e32 v41, 0x3bf1, v6
	v_mul_f16_e32 v11, 0x2fb7, v36
	v_add_f16_e32 v27, v48, v27
	v_add_f16_e32 v12, v12, v18
	;; [unrolled: 1-line block ×4, first 2 shown]
	v_fmamk_f16 v21, v37, 0x2fb7, v41
	v_fmamk_f16 v45, v40, 0xbbf1, v11
	v_mul_f16_e32 v34, 0x388b, v36
	v_fmac_f16_e32 v11, 0x3bf1, v40
	v_mul_f16_e32 v35, 0xba95, v6
	v_add_f16_e32 v21, v21, v30
	v_fma_f16 v30, v37, 0x2fb7, -v41
	v_fmamk_f16 v41, v40, 0x3a95, v34
	v_add_f16_e32 v11, v11, v13
	v_fmamk_f16 v13, v37, 0x388b, v35
	v_fmac_f16_e32 v34, 0xba95, v40
	v_add_f16_e32 v23, v30, v23
	v_pk_mul_f16 v30, 0x377033a8, v6
	v_add_f16_e32 v19, v41, v19
	v_add_f16_e32 v13, v13, v22
	v_mul_f16_e32 v22, 0xbbc4, v36
	v_add_f16_e32 v31, v45, v31
	v_pk_fma_f16 v41, 0xbbc43b15, v36, v30 op_sel:[0,0,1] op_sel_hi:[1,1,0]
	v_pk_fma_f16 v30, 0xbbc43b15, v36, v30 op_sel:[0,0,1] op_sel_hi:[1,1,0] neg_lo:[0,0,1] neg_hi:[0,0,1]
	v_add_f16_e32 v24, v34, v24
	v_fma_f16 v34, v37, 0x388b, -v35
	v_mul_f16_e32 v35, 0x3770, v6
	v_fmamk_f16 v45, v40, 0xb3a8, v22
	v_fmac_f16_e32 v22, 0x33a8, v40
	v_bfi_b32 v48, 0xffff, v41, v30
	v_mul_f16_e32 v36, 0xb5ac, v36
	v_add_f16_e32 v25, v34, v25
	v_fmamk_f16 v34, v37, 0x3b15, v35
	v_add_f16_e32 v14, v45, v14
	v_add_f16_e32 v45, v22, v26
	v_pk_add_f16 v29, v48, v29
	v_fma_f16 v22, v37, 0x3b15, -v35
	v_fmamk_f16 v26, v40, 0x3b7b, v36
	v_mul_f16_e32 v6, 0xbb7b, v6
	v_pk_add_f16 v48, v2, v3
	v_pk_add_f16 v2, v2, v3 neg_lo:[0,1] neg_hi:[0,1]
	v_add_f16_e32 v49, v34, v27
	v_add_f16_e32 v3, v22, v28
	;; [unrolled: 1-line block ×3, first 2 shown]
	v_fmamk_f16 v22, v37, 0xb5ac, v6
	v_mul_f16_e32 v26, 0xbbc4, v48
	v_lshrrev_b32_e32 v50, 16, v2
	v_fma_f16 v6, v37, 0xb5ac, -v6
	v_lshrrev_b32_e32 v51, 16, v48
	v_mul_f16_e32 v27, 0xb3a8, v2
	v_fmac_f16_e32 v36, 0xbb7b, v40
	v_fmamk_f16 v28, v50, 0x33a8, v26
	v_add_f16_e32 v6, v6, v8
	v_add_f16_e32 v1, v1, v5
	v_fmamk_f16 v8, v51, 0xbbc4, v27
	v_add_f16_e32 v52, v36, v17
	v_add_f16_e32 v17, v28, v10
	v_mul_f16_e32 v10, 0x3b15, v48
	v_mul_f16_e32 v28, 0x3770, v2
	v_add_f16_e32 v36, v8, v12
	v_fma_f16 v8, v51, 0xbbc4, -v27
	v_add_f16_e32 v9, v22, v9
	v_fmamk_f16 v12, v50, 0xb770, v10
	v_fmamk_f16 v27, v51, 0x3b15, v28
	v_fmac_f16_e32 v10, 0x3770, v50
	v_add_f16_e32 v34, v8, v20
	v_lshrrev_b32_e32 v8, 16, v38
	v_add_f16_e32 v22, v12, v31
	v_add_f16_e32 v37, v27, v21
	;; [unrolled: 1-line block ×3, first 2 shown]
	v_fma_f16 v10, v51, 0x3b15, -v28
	v_mul_f16_e32 v11, 0xb9fd, v48
	v_add_f16_e32 v4, v4, v8
	v_lshrrev_b32_e32 v8, 16, v44
	v_mul_f16_e32 v12, 0xb94e, v2
	v_add_f16_e32 v35, v10, v23
	v_fmamk_f16 v10, v50, 0x394e, v11
	v_lshrrev_b32_e32 v5, 16, v43
	v_add_f16_e32 v4, v8, v4
	v_lshrrev_b32_e32 v8, 16, v39
	v_add_f16_e32 v1, v42, v1
	v_add_f16_e32 v23, v10, v19
	v_pk_mul_f16 v10, 0xbb7b3a95, v2
	v_fmamk_f16 v20, v51, 0xb9fd, v12
	v_add_f16_e32 v4, v8, v4
	v_fmac_f16_e32 v11, 0xb94e, v50
	v_fma_f16 v8, v51, 0xb9fd, -v12
	v_add_f16_e32 v1, v46, v1
	v_pk_fma_f16 v12, 0x388bb5ac, v48, v10 op_sel:[0,0,1] op_sel_hi:[1,1,0]
	v_add_f16_e32 v4, v5, v4
	v_lshrrev_b32_e32 v5, 16, v41
	v_add_f16_e32 v40, v20, v13
	v_add_f16_e32 v20, v11, v24
	v_mul_f16_e32 v11, 0x388b, v48
	v_add_f16_e32 v1, v47, v1
	v_add_f16_e32 v4, v5, v4
	v_lshrrev_b32_e32 v5, 16, v12
	v_add_f16_e32 v38, v8, v25
	v_fmamk_f16 v8, v50, 0xba95, v11
	v_fmac_f16_e32 v11, 0x3a95, v50
	v_pk_fma_f16 v10, 0x388bb5ac, v48, v10 op_sel:[0,0,1] op_sel_hi:[1,1,0] neg_lo:[0,0,1] neg_hi:[0,0,1]
	v_add_f16_e32 v1, v30, v1
	v_mul_f16_e32 v13, 0xbb7b, v2
	v_add_f16_e32 v42, v5, v4
	v_mul_f16_e32 v4, 0x2fb7, v48
	v_mul_f16_e32 v2, 0x3bf1, v2
	v_fmac_f16_e32 v26, 0xb3a8, v50
	v_add_f16_e32 v25, v11, v45
	v_add_f16_e32 v27, v10, v1
	v_fmamk_f16 v1, v51, 0xb5ac, v13
	v_bfi_b32 v5, 0xffff, v12, v10
	v_fmamk_f16 v10, v50, 0xbbf1, v4
	v_fmamk_f16 v11, v51, 0x2fb7, v2
	v_fmac_f16_e32 v4, 0x3bf1, v50
	v_fma_f16 v2, v51, 0x2fb7, -v2
	v_add_f16_e32 v18, v26, v18
	v_add_f16_e32 v26, v8, v14
	v_fma_f16 v8, v51, 0xb5ac, -v13
	v_add_f16_e32 v41, v1, v49
	v_pk_add_f16 v24, v5, v29
	v_mad_u32_u24 v1, 0x1d4, v32, 0
	v_add_f16_e32 v28, v10, v7
	v_add_f16_e32 v44, v11, v9
	;; [unrolled: 1-line block ×5, first 2 shown]
	v_lshl_add_u32 v3, v33, 2, v1
	v_pack_b32_f16 v5, v17, v36
	v_pack_b32_f16 v2, v28, v44
	;; [unrolled: 1-line block ×7, first 2 shown]
	ds_store_2addr_b32 v3, v16, v5 offset1:9
	ds_store_2addr_b32 v3, v7, v8 offset0:18 offset1:27
	ds_store_2addr_b32 v3, v9, v10 offset0:36 offset1:45
	v_pack_b32_f16 v5, v24, v39
	v_bfi_b32 v6, 0xffff, v25, v24
	ds_store_2addr_b32 v3, v2, v4 offset0:54 offset1:63
	v_lshrrev_b32_e32 v43, 16, v24
	v_pack_b32_f16 v2, v18, v34
	v_pack_b32_f16 v7, v20, v38
	;; [unrolled: 1-line block ×3, first 2 shown]
	ds_store_2addr_b32 v3, v5, v6 offset0:72 offset1:81
	ds_store_2addr_b32 v3, v7, v8 offset0:90 offset1:99
	ds_store_b32 v3, v2 offset:432
	s_waitcnt lgkmcnt(0)
	s_barrier
	buffer_gl0_inv
                                        ; implicit-def: $vgpr46
                                        ; implicit-def: $vgpr47
                                        ; implicit-def: $vgpr30
                                        ; implicit-def: $vgpr48
	s_and_saveexec_b32 s1, s0
	s_cbranch_execz .LBB0_16
; %bb.15:
	v_mul_i32_i24_e32 v0, 0xfffffe50, v32
	v_lshlrev_b32_e32 v2, 2, v33
	s_delay_alu instid0(VALU_DEP_1) | instskip(NEXT) | instid1(VALU_DEP_1)
	v_add3_u32 v0, v1, v0, v2
	v_add_nc_u32_e32 v1, 0xe00, v0
	v_add_nc_u32_e32 v2, 0x1200, v0
	;; [unrolled: 1-line block ×3, first 2 shown]
	ds_load_2addr_b32 v[16:17], v0 offset1:117
	ds_load_2addr_b32 v[24:25], v1 offset0:40 offset1:157
	v_add_nc_u32_e32 v1, 0x1800, v0
	ds_load_2addr_b32 v[20:21], v2 offset0:18 offset1:135
	v_add_nc_u32_e32 v2, 0x200, v0
	;; [unrolled: 2-line block ×3, first 2 shown]
	v_add_nc_u32_e32 v0, 0xa00, v0
	ds_load_2addr_b32 v[30:31], v1 offset0:102 offset1:219
	ds_load_2addr_b32 v[22:23], v2 offset0:106 offset1:223
	;; [unrolled: 1-line block ×4, first 2 shown]
	s_waitcnt lgkmcnt(7)
	v_lshrrev_b32_e32 v36, 16, v17
	s_waitcnt lgkmcnt(6)
	v_lshrrev_b32_e32 v39, 16, v24
	v_lshrrev_b32_e32 v43, 16, v25
	s_waitcnt lgkmcnt(5)
	v_lshrrev_b32_e32 v38, 16, v20
	;; [unrolled: 3-line block ×7, first 2 shown]
	v_lshrrev_b32_e32 v45, 16, v29
.LBB0_16:
	s_or_b32 exec_lo, exec_lo, s1
	v_mul_lo_u16 v0, v32, 20
	s_and_b32 s1, s0, s12
	s_delay_alu instid0(VALU_DEP_1) | instskip(NEXT) | instid1(VALU_DEP_1)
	v_lshrrev_b16 v0, 8, v0
	v_mul_lo_u16 v0, v0, 13
	s_delay_alu instid0(VALU_DEP_1) | instskip(NEXT) | instid1(VALU_DEP_1)
	v_sub_nc_u16 v0, v32, v0
	v_and_b32_e32 v49, 0xff, v0
	s_delay_alu instid0(VALU_DEP_1)
	v_mul_u32_u24_e32 v0, 15, v49
	v_mul_lo_u32 v50, v15, v49
	v_add_nc_u32_e32 v51, 13, v49
	v_add_nc_u32_e32 v52, 26, v49
	;; [unrolled: 1-line block ×3, first 2 shown]
	v_lshlrev_b32_e32 v12, 2, v0
	v_add_nc_u32_e32 v54, 52, v49
	v_add_nc_u32_e32 v55, 0x41, v49
	;; [unrolled: 1-line block ×3, first 2 shown]
	v_mul_lo_u32 v51, v15, v51
	s_clause 0x3
	global_load_b128 v[4:7], v12, s[16:17]
	global_load_b128 v[0:3], v12, s[16:17] offset:16
	global_load_b128 v[8:11], v12, s[16:17] offset:32
	global_load_b96 v[12:14], v12, s[16:17] offset:48
	v_and_b32_e32 v57, 0xff, v50
	v_mul_lo_u32 v52, v15, v52
	v_lshrrev_b32_e32 v50, 6, v50
	v_mul_lo_u32 v53, v15, v53
	v_mul_lo_u32 v54, v15, v54
	;; [unrolled: 1-line block ×4, first 2 shown]
	v_lshlrev_b32_e32 v57, 2, v57
	v_and_b32_e32 v50, 0x3fc, v50
	v_and_b32_e32 v58, 0xff, v51
	v_lshrrev_b32_e32 v51, 6, v51
	v_and_b32_e32 v59, 0xff, v52
	v_lshrrev_b32_e32 v52, 6, v52
	s_clause 0x1
	global_load_b32 v57, v57, s[8:9]
	global_load_b32 v62, v50, s[8:9] offset:1024
	v_and_b32_e32 v60, 0xff, v53
	v_lshrrev_b32_e32 v53, 6, v53
	v_and_b32_e32 v61, 0xff, v54
	v_lshrrev_b32_e32 v54, 6, v54
	;; [unrolled: 2-line block ×4, first 2 shown]
	v_lshlrev_b32_e32 v58, 2, v58
	v_and_b32_e32 v51, 0x3fc, v51
	v_lshlrev_b32_e32 v59, 2, v59
	v_and_b32_e32 v52, 0x3fc, v52
	;; [unrolled: 2-line block ×6, first 2 shown]
	s_clause 0xb
	global_load_b32 v58, v58, s[8:9]
	global_load_b32 v64, v51, s[8:9] offset:1024
	global_load_b32 v59, v59, s[8:9]
	global_load_b32 v52, v52, s[8:9] offset:1024
	;; [unrolled: 2-line block ×6, first 2 shown]
	v_add_nc_u32_e32 v63, 0x5b, v49
	v_add_nc_u32_e32 v66, 0x68, v49
	;; [unrolled: 1-line block ×5, first 2 shown]
	v_mul_lo_u32 v63, v15, v63
	v_add_nc_u32_e32 v70, 0x9c, v49
	v_add_nc_u32_e32 v71, 0xa9, v49
	v_add_nc_u32_e32 v72, 0xb6, v49
	v_add_nc_u32_e32 v49, 0xc3, v49
	v_mul_lo_u32 v66, v15, v66
	v_mul_lo_u32 v67, v15, v67
	;; [unrolled: 1-line block ×8, first 2 shown]
	v_and_b32_e32 v49, 0xff, v63
	v_lshrrev_b32_e32 v63, 6, v63
	v_and_b32_e32 v73, 0xff, v66
	v_lshrrev_b32_e32 v66, 6, v66
	v_and_b32_e32 v74, 0xff, v67
	v_lshlrev_b32_e32 v49, 2, v49
	v_and_b32_e32 v63, 0x3fc, v63
	s_clause 0x1
	global_load_b32 v49, v49, s[8:9]
	global_load_b32 v63, v63, s[8:9] offset:1024
	v_lshlrev_b32_e32 v73, 2, v73
	v_and_b32_e32 v66, 0x3fc, v66
	s_clause 0x1
	global_load_b32 v73, v73, s[8:9]
	global_load_b32 v66, v66, s[8:9] offset:1024
	v_lshrrev_b32_e32 v67, 6, v67
	v_lshlrev_b32_e32 v74, 2, v74
	v_and_b32_e32 v75, 0xff, v68
	v_lshrrev_b32_e32 v68, 6, v68
	v_and_b32_e32 v76, 0xff, v69
	v_and_b32_e32 v67, 0x3fc, v67
	s_clause 0x1
	global_load_b32 v74, v74, s[8:9]
	global_load_b32 v67, v67, s[8:9] offset:1024
	v_lshrrev_b32_e32 v69, 6, v69
	v_and_b32_e32 v77, 0xff, v70
	v_lshrrev_b32_e32 v70, 6, v70
	v_and_b32_e32 v78, 0xff, v71
	v_lshrrev_b32_e32 v71, 6, v71
	v_and_b32_e32 v79, 0xff, v72
	v_lshrrev_b32_e32 v72, 6, v72
	v_and_b32_e32 v80, 0xff, v15
	v_lshrrev_b32_e32 v15, 6, v15
	v_lshlrev_b32_e32 v75, 2, v75
	v_and_b32_e32 v68, 0x3fc, v68
	v_lshlrev_b32_e32 v76, 2, v76
	v_and_b32_e32 v69, 0x3fc, v69
	;; [unrolled: 2-line block ×6, first 2 shown]
	s_clause 0xb
	global_load_b32 v75, v75, s[8:9]
	global_load_b32 v68, v68, s[8:9] offset:1024
	global_load_b32 v76, v76, s[8:9]
	global_load_b32 v69, v69, s[8:9] offset:1024
	;; [unrolled: 2-line block ×6, first 2 shown]
	v_lshrrev_b32_e32 v56, 16, v16
	s_waitcnt vmcnt(35)
	v_lshrrev_b32_e32 v81, 16, v4
	v_lshrrev_b32_e32 v82, 16, v5
	;; [unrolled: 1-line block ×4, first 2 shown]
	s_waitcnt vmcnt(34)
	v_lshrrev_b32_e32 v85, 16, v0
	v_mul_f16_e32 v92, v17, v81
	v_mul_f16_e32 v90, v37, v82
	;; [unrolled: 1-line block ×3, first 2 shown]
	v_lshrrev_b32_e32 v86, 16, v1
	v_lshrrev_b32_e32 v87, 16, v2
	;; [unrolled: 1-line block ×3, first 2 shown]
	v_mul_f16_e32 v91, v40, v83
	v_mul_f16_e32 v83, v23, v83
	;; [unrolled: 1-line block ×3, first 2 shown]
	v_fmac_f16_e32 v92, v36, v4
	v_mul_f16_e32 v36, v26, v84
	v_fmac_f16_e32 v82, v37, v5
	v_mul_f16_e32 v37, v42, v84
	s_waitcnt vmcnt(33)
	v_lshrrev_b32_e32 v89, 16, v8
	v_fma_f16 v22, v22, v5, -v90
	v_fma_f16 v23, v23, v6, -v91
	v_lshrrev_b32_e32 v90, 16, v9
	v_lshrrev_b32_e32 v91, 16, v10
	;; [unrolled: 1-line block ×3, first 2 shown]
	v_fmac_f16_e32 v83, v40, v6
	s_waitcnt vmcnt(32)
	v_lshrrev_b32_e32 v6, 16, v12
	v_fmac_f16_e32 v36, v42, v7
	v_lshrrev_b32_e32 v40, 16, v13
	v_fma_f16 v4, v17, v4, -v81
	v_fma_f16 v7, v26, v7, -v37
	v_lshrrev_b32_e32 v17, 16, v14
	v_mul_f16_e32 v26, v41, v85
	v_mul_f16_e32 v37, v27, v85
	v_mul_f16_e32 v42, v44, v86
	v_mul_f16_e32 v81, v28, v86
	v_mul_f16_e32 v84, v45, v87
	v_mul_f16_e32 v85, v29, v87
	v_mul_f16_e32 v86, v24, v88
	v_fma_f16 v26, v27, v0, -v26
	v_mul_f16_e32 v27, v39, v88
	v_mul_f16_e32 v87, v43, v89
	;; [unrolled: 1-line block ×3, first 2 shown]
	v_fma_f16 v28, v28, v1, -v42
	v_fma_f16 v29, v29, v2, -v84
	v_mul_f16_e32 v42, v38, v90
	v_mul_f16_e32 v84, v20, v90
	;; [unrolled: 1-line block ×4, first 2 shown]
	v_fmac_f16_e32 v37, v41, v0
	v_mul_f16_e32 v0, v34, v5
	v_mul_f16_e32 v5, v18, v5
	v_fmac_f16_e32 v81, v44, v1
	v_mul_f16_e32 v1, v46, v6
	v_mul_f16_e32 v6, v19, v6
	;; [unrolled: 3-line block ×4, first 2 shown]
	v_fma_f16 v3, v24, v3, -v27
	s_waitcnt vmcnt(31)
	v_lshrrev_b32_e32 v24, 16, v57
	s_waitcnt vmcnt(30)
	v_lshrrev_b32_e32 v27, 16, v62
	v_fma_f16 v25, v25, v8, -v87
	v_fmac_f16_e32 v88, v43, v8
	v_fma_f16 v8, v20, v9, -v42
	v_fmac_f16_e32 v84, v38, v9
	;; [unrolled: 2-line block ×7, first 2 shown]
	v_mul_f16_e32 v11, v24, v27
	v_mul_f16_e32 v12, v57, v27
	s_waitcnt vmcnt(29)
	v_lshrrev_b32_e32 v13, 16, v58
	s_waitcnt vmcnt(28)
	v_lshrrev_b32_e32 v14, 16, v64
	;; [unrolled: 2-line block ×10, first 2 shown]
	v_sub_f16_e32 v3, v16, v3
	v_sub_f16_e32 v39, v56, v86
	;; [unrolled: 1-line block ×16, first 2 shown]
	v_fma_f16 v11, v57, v62, -v11
	v_fmac_f16_e32 v12, v24, v62
	v_mul_f16_e32 v24, v13, v14
	v_mul_f16_e32 v14, v58, v14
	;; [unrolled: 1-line block ×8, first 2 shown]
	v_fma_f16 v16, v16, 2.0, -v3
	v_fma_f16 v56, v56, 2.0, -v39
	;; [unrolled: 1-line block ×16, first 2 shown]
	v_add_f16_e32 v0, v39, v0
	v_add_f16_e32 v2, v41, v2
	;; [unrolled: 1-line block ×4, first 2 shown]
	v_mul_f16_e32 v19, v59, v19
	v_mul_f16_e32 v30, v61, v30
	v_sub_f16_e32 v5, v3, v5
	v_sub_f16_e32 v40, v8, v40
	;; [unrolled: 1-line block ×4, first 2 shown]
	v_fmac_f16_e32 v14, v13, v64
	v_fma_f16 v13, v59, v52, -v44
	v_fmac_f16_e32 v21, v20, v53
	v_fma_f16 v20, v61, v54, -v46
	v_fmac_f16_e32 v34, v31, v55
	v_sub_f16_e32 v7, v16, v7
	v_sub_f16_e32 v31, v56, v36
	v_fma_f16 v36, v39, 2.0, -v0
	v_sub_f16_e32 v28, v22, v28
	v_sub_f16_e32 v39, v57, v62
	v_fma_f16 v41, v41, 2.0, -v2
	v_sub_f16_e32 v26, v4, v26
	v_sub_f16_e32 v37, v81, v37
	v_fma_f16 v42, v42, 2.0, -v1
	v_sub_f16_e32 v29, v23, v29
	v_sub_f16_e32 v44, v82, v83
	v_fma_f16 v43, v43, 2.0, -v10
	v_fmamk_f16 v46, v2, 0x39a8, v0
	v_fma_f16 v24, v58, v64, -v24
	v_fmac_f16_e32 v19, v18, v52
	v_fma_f16 v18, v60, v53, -v45
	v_fmac_f16_e32 v30, v27, v54
	v_fma_f16 v27, v65, v55, -v47
	v_fma_f16 v3, v3, 2.0, -v5
	v_fma_f16 v8, v8, 2.0, -v40
	;; [unrolled: 1-line block ×4, first 2 shown]
	v_fmamk_f16 v45, v40, 0x39a8, v5
	v_fmamk_f16 v47, v17, 0x39a8, v6
	;; [unrolled: 1-line block ×3, first 2 shown]
	v_fma_f16 v16, v16, 2.0, -v7
	v_fma_f16 v53, v56, 2.0, -v31
	;; [unrolled: 1-line block ×8, first 2 shown]
	v_fmamk_f16 v58, v41, 0xb9a8, v36
	v_fmac_f16_e32 v46, 0x39a8, v40
	v_fmamk_f16 v40, v43, 0xb9a8, v42
	v_fmamk_f16 v57, v8, 0xb9a8, v3
	v_sub_f16_e32 v39, v7, v39
	v_add_f16_e32 v28, v31, v28
	v_fmac_f16_e32 v45, 0xb9a8, v2
	v_fmamk_f16 v2, v9, 0xb9a8, v25
	v_sub_f16_e32 v44, v26, v44
	v_add_f16_e32 v29, v37, v29
	v_fmac_f16_e32 v47, 0xb9a8, v10
	v_fmac_f16_e32 v52, 0x39a8, v17
	v_sub_f16_e32 v10, v16, v22
	v_sub_f16_e32 v17, v53, v54
	v_fmac_f16_e32 v58, 0x39a8, v8
	v_sub_f16_e32 v22, v4, v23
	v_sub_f16_e32 v23, v55, v56
	v_fmac_f16_e32 v40, 0x39a8, v9
	v_fmac_f16_e32 v57, 0xb9a8, v41
	v_fma_f16 v7, v7, 2.0, -v39
	v_fma_f16 v8, v31, 2.0, -v28
	;; [unrolled: 1-line block ×4, first 2 shown]
	v_fmac_f16_e32 v2, 0xb9a8, v43
	v_fma_f16 v9, v26, 2.0, -v44
	v_fma_f16 v26, v37, 2.0, -v29
	;; [unrolled: 1-line block ×4, first 2 shown]
	v_fmamk_f16 v31, v44, 0x39a8, v39
	v_fmamk_f16 v43, v52, 0x3b64, v46
	v_fma_f16 v16, v16, 2.0, -v10
	v_fma_f16 v53, v53, 2.0, -v17
	;; [unrolled: 1-line block ×6, first 2 shown]
	v_fmamk_f16 v37, v29, 0x39a8, v28
	v_fmamk_f16 v41, v47, 0x3b64, v45
	v_fma_f16 v3, v3, 2.0, -v57
	v_fma_f16 v25, v25, 2.0, -v2
	v_fmamk_f16 v55, v9, 0xb9a8, v7
	v_fmamk_f16 v56, v26, 0xb9a8, v8
	;; [unrolled: 1-line block ×4, first 2 shown]
	v_sub_f16_e32 v23, v10, v23
	v_add_f16_e32 v22, v17, v22
	v_fmac_f16_e32 v31, 0xb9a8, v29
	v_fmac_f16_e32 v43, 0x361f, v47
	v_sub_f16_e32 v4, v16, v4
	v_sub_f16_e32 v29, v53, v54
	v_fmamk_f16 v47, v42, 0xbb64, v36
	v_fmamk_f16 v61, v2, 0x361f, v57
	;; [unrolled: 1-line block ×3, first 2 shown]
	v_fmac_f16_e32 v37, 0x39a8, v44
	v_fmamk_f16 v44, v25, 0xbb64, v3
	v_fmac_f16_e32 v55, 0xb9a8, v26
	v_fmac_f16_e32 v56, 0x39a8, v9
	v_fmac_f16_e32 v59, 0xbb64, v1
	v_fmac_f16_e32 v60, 0x3b64, v6
	v_fma_f16 v1, v10, 2.0, -v23
	v_fma_f16 v6, v17, 2.0, -v22
	;; [unrolled: 1-line block ×4, first 2 shown]
	v_fmac_f16_e32 v47, 0x361f, v25
	s_waitcnt vmcnt(18)
	v_lshrrev_b32_e32 v38, 16, v51
	v_fmac_f16_e32 v41, 0xb61f, v52
	v_fmac_f16_e32 v61, 0xbb64, v40
	;; [unrolled: 1-line block ×3, first 2 shown]
	v_fma_f16 v2, v39, 2.0, -v31
	v_fmac_f16_e32 v44, 0xb61f, v42
	v_fma_f16 v7, v7, 2.0, -v55
	v_fma_f16 v8, v8, 2.0, -v56
	;; [unrolled: 1-line block ×4, first 2 shown]
	v_mul_f16_e32 v39, v6, v30
	v_mul_f16_e32 v40, v1, v30
	v_fma_f16 v30, v36, 2.0, -v47
	v_mul_f16_e32 v36, v12, v26
	v_mul_f16_e32 v12, v12, v16
	v_lshrrev_b32_e32 v35, 16, v50
	v_mul_f16_e32 v48, v50, v38
	v_fma_f16 v10, v45, 2.0, -v41
	v_fma_f16 v3, v3, 2.0, -v44
	v_mul_f16_e32 v42, v8, v19
	v_mul_f16_e32 v19, v7, v19
	;; [unrolled: 1-line block ×4, first 2 shown]
	v_fmac_f16_e32 v40, v6, v20
	v_fma_f16 v6, v11, v16, -v36
	v_fmac_f16_e32 v12, v11, v26
	v_mul_f16_e32 v11, v14, v30
	v_fma_f16 v9, v28, 2.0, -v37
	v_fmac_f16_e32 v19, v8, v13
	v_fmac_f16_e32 v21, v0, v18
	v_mul_f16_e32 v8, v35, v38
	v_fma_f16 v0, v24, v3, -v11
	s_waitcnt vmcnt(16)
	v_lshrrev_b32_e32 v11, 16, v63
	v_fmac_f16_e32 v48, v35, v51
	v_fma_f16 v25, v57, 2.0, -v61
	v_fma_f16 v28, v58, 2.0, -v62
	v_fma_f16 v1, v1, v20, -v39
	v_fma_f16 v5, v5, v18, -v45
	v_lshrrev_b32_e32 v16, 16, v49
	v_fma_f16 v8, v50, v51, -v8
	v_mul_f16_e32 v18, v49, v11
	v_mul_f16_e32 v20, v9, v48
	;; [unrolled: 1-line block ×3, first 2 shown]
	v_fma_f16 v7, v7, v13, -v42
	v_mul_f16_e32 v3, v28, v34
	v_mul_f16_e32 v13, v25, v34
	;; [unrolled: 1-line block ×3, first 2 shown]
	v_fmac_f16_e32 v18, v16, v63
	v_fma_f16 v34, v2, v8, -v20
	v_mul_f16_e32 v2, v2, v48
	s_waitcnt vmcnt(14)
	v_lshrrev_b32_e32 v16, 16, v66
	v_fma_f16 v17, v46, 2.0, -v43
	v_fmac_f16_e32 v14, v24, v30
	v_lshrrev_b32_e32 v24, 16, v73
	v_fmac_f16_e32 v2, v9, v8
	v_mul_f16_e32 v9, v73, v16
	v_fma_f16 v11, v49, v63, -v11
	v_mul_f16_e32 v20, v17, v18
	s_waitcnt vmcnt(12)
	v_lshrrev_b32_e32 v8, 16, v67
	v_mul_f16_e32 v16, v24, v16
	v_fmac_f16_e32 v9, v24, v66
	v_fma_f16 v3, v25, v27, -v3
	v_fma_f16 v35, v10, v11, -v20
	v_lshrrev_b32_e32 v20, 16, v74
	v_mul_f16_e32 v25, v74, v8
	v_mul_f16_e32 v10, v10, v18
	v_fma_f16 v16, v73, v66, -v16
	v_mul_f16_e32 v18, v29, v9
	v_mul_f16_e32 v9, v4, v9
	v_fmac_f16_e32 v25, v20, v67
	v_fmac_f16_e32 v10, v17, v11
	s_waitcnt vmcnt(10)
	v_lshrrev_b32_e32 v17, 16, v68
	v_fma_f16 v4, v4, v16, -v18
	s_waitcnt vmcnt(8)
	v_lshrrev_b32_e32 v18, 16, v69
	v_mul_f16_e32 v8, v20, v8
	v_mul_f16_e32 v11, v47, v25
	v_fmac_f16_e32 v9, v29, v16
	v_lshrrev_b32_e32 v16, 16, v75
	v_mul_f16_e32 v20, v75, v17
	v_mul_f16_e32 v36, v44, v25
	v_lshrrev_b32_e32 v24, 16, v76
	v_mul_f16_e32 v25, v76, v18
	v_fma_f16 v8, v74, v67, -v8
	v_mul_f16_e32 v17, v16, v17
	v_fmac_f16_e32 v20, v16, v68
	v_mul_f16_e32 v16, v24, v18
	v_fmac_f16_e32 v25, v24, v69
	v_fma_f16 v11, v44, v8, -v11
	v_fmac_f16_e32 v36, v47, v8
	v_fma_f16 v8, v75, v68, -v17
	v_mul_f16_e32 v17, v56, v20
	v_mul_f16_e32 v38, v55, v20
	s_waitcnt vmcnt(6)
	v_lshrrev_b32_e32 v18, 16, v70
	v_fma_f16 v16, v76, v69, -v16
	v_mul_f16_e32 v20, v60, v25
	v_fma_f16 v39, v55, v8, -v17
	v_lshrrev_b32_e32 v17, 16, v77
	v_mul_f16_e32 v24, v77, v18
	v_fmac_f16_e32 v38, v56, v8
	v_fma_f16 v8, v59, v16, -v20
	s_waitcnt vmcnt(4)
	v_lshrrev_b32_e32 v20, 16, v71
	v_mul_f16_e32 v18, v17, v18
	v_fmac_f16_e32 v24, v17, v70
	v_lshrrev_b32_e32 v17, 16, v78
	v_mul_f16_e32 v42, v59, v25
	v_mul_f16_e32 v25, v78, v20
	v_fma_f16 v18, v77, v70, -v18
	v_mul_f16_e32 v26, v22, v24
	v_mul_f16_e32 v20, v17, v20
	;; [unrolled: 1-line block ×3, first 2 shown]
	v_fmac_f16_e32 v25, v17, v71
	v_fmac_f16_e32 v42, v60, v16
	v_fma_f16 v45, v23, v18, -v26
	v_fma_f16 v16, v78, v71, -v20
	s_waitcnt vmcnt(2)
	v_lshrrev_b32_e32 v17, 16, v72
	v_mul_f16_e32 v20, v62, v25
	v_fmac_f16_e32 v44, v22, v18
	s_waitcnt vmcnt(0)
	v_lshrrev_b32_e32 v18, 16, v15
	v_lshrrev_b32_e32 v22, 16, v79
	v_mul_f16_e32 v23, v79, v17
	v_fma_f16 v46, v61, v16, -v20
	v_lshrrev_b32_e32 v20, 16, v80
	v_mul_f16_e32 v24, v80, v18
	v_mul_f16_e32 v17, v22, v17
	v_fmac_f16_e32 v23, v22, v72
	v_mul_f16_e32 v47, v61, v25
	v_mul_f16_e32 v18, v20, v18
	v_fmac_f16_e32 v24, v20, v15
	v_fma_f16 v17, v79, v72, -v17
	v_mul_f16_e32 v20, v37, v23
	v_mul_f16_e32 v48, v31, v23
	v_fma_f16 v15, v80, v15, -v18
	v_mul_f16_e32 v18, v43, v24
	v_mul_f16_e32 v49, v41, v24
	v_fmac_f16_e32 v13, v28, v27
	v_fmac_f16_e32 v47, v62, v16
	v_fma_f16 v31, v31, v17, -v20
	v_fmac_f16_e32 v48, v37, v17
	v_fma_f16 v37, v41, v15, -v18
	v_fmac_f16_e32 v49, v43, v15
	v_perm_b32 v28, v12, v6, 0x5040100
	v_add_nc_u32_e32 v30, 13, v32
	v_perm_b32 v27, v14, v0, 0x5040100
	v_add_nc_u32_e32 v29, 26, v32
	;; [unrolled: 2-line block ×15, first 2 shown]
	v_perm_b32 v2, v49, v37, 0x5040100
	s_and_saveexec_b32 s8, s1
	s_cbranch_execz .LBB0_18
; %bb.17:
	v_mad_u64_u32 v[34:35], null, s6, v33, 0
	v_mad_u64_u32 v[36:37], null, s4, v32, 0
	v_mad_u64_u32 v[38:39], null, s4, v30, 0
	s_lshl_b64 s[14:15], s[10:11], 2
	s_delay_alu instid0(SALU_CYCLE_1) | instskip(NEXT) | instid1(VALU_DEP_3)
	s_add_u32 s1, s2, s14
	v_mov_b32_e32 v31, v35
	s_delay_alu instid0(VALU_DEP_3) | instskip(SKIP_1) | instid1(VALU_DEP_2)
	v_mov_b32_e32 v35, v37
	s_addc_u32 s9, s3, s15
	v_mad_u64_u32 v[40:41], null, s7, v33, v[31:32]
	s_delay_alu instid0(VALU_DEP_2) | instskip(SKIP_2) | instid1(VALU_DEP_4)
	v_mad_u64_u32 v[43:44], null, s5, v32, v[35:36]
	v_mov_b32_e32 v31, v39
	v_mad_u64_u32 v[41:42], null, s4, v29, 0
	v_mov_b32_e32 v35, v40
	s_delay_alu instid0(VALU_DEP_3) | instskip(SKIP_2) | instid1(VALU_DEP_4)
	v_mad_u64_u32 v[44:45], null, s5, v30, v[31:32]
	v_mov_b32_e32 v37, v43
	v_mad_u64_u32 v[45:46], null, s4, v23, 0
	v_lshlrev_b64 v[34:35], 2, v[34:35]
	v_mov_b32_e32 v31, v42
	s_delay_alu instid0(VALU_DEP_4) | instskip(SKIP_1) | instid1(VALU_DEP_4)
	v_lshlrev_b64 v[36:37], 2, v[36:37]
	v_mov_b32_e32 v39, v44
	v_add_co_u32 v47, s1, s1, v34
	s_delay_alu instid0(VALU_DEP_1) | instskip(SKIP_1) | instid1(VALU_DEP_4)
	v_add_co_ci_u32_e64 v48, s1, s9, v35, s1
	v_mad_u64_u32 v[42:43], null, s5, v29, v[31:32]
	v_lshlrev_b64 v[34:35], 2, v[38:39]
	s_delay_alu instid0(VALU_DEP_4) | instskip(NEXT) | instid1(VALU_DEP_1)
	v_add_co_u32 v36, s1, v47, v36
	v_add_co_ci_u32_e64 v37, s1, v48, v37, s1
	v_mad_u64_u32 v[38:39], null, s4, v25, 0
	v_mad_u64_u32 v[43:44], null, s4, v26, 0
	v_add_co_u32 v34, s1, v47, v34
	global_store_b32 v[36:37], v28, off
	v_lshlrev_b64 v[36:37], 2, v[41:42]
	v_add_co_ci_u32_e64 v35, s1, v48, v35, s1
	v_mov_b32_e32 v31, v39
	global_store_b32 v[34:35], v27, off
	v_mov_b32_e32 v34, v44
	v_add_co_u32 v35, s1, v47, v36
	v_mad_u64_u32 v[39:40], null, s5, v25, v[31:32]
	v_add_co_ci_u32_e64 v36, s1, v48, v37, s1
	s_delay_alu instid0(VALU_DEP_3)
	v_mad_u64_u32 v[40:41], null, s5, v26, v[34:35]
	v_mad_u64_u32 v[41:42], null, s4, v22, 0
	global_store_b32 v[35:36], v24, off
	v_lshlrev_b64 v[34:35], 2, v[38:39]
	v_mov_b32_e32 v36, v46
	v_dual_mov_b32 v44, v40 :: v_dual_mov_b32 v31, v42
	s_delay_alu instid0(VALU_DEP_3) | instskip(NEXT) | instid1(VALU_DEP_2)
	v_add_co_u32 v34, s1, v47, v34
	v_lshlrev_b64 v[37:38], 2, v[43:44]
	v_add_co_ci_u32_e64 v35, s1, v48, v35, s1
	s_delay_alu instid0(VALU_DEP_4) | instskip(NEXT) | instid1(VALU_DEP_3)
	v_mad_u64_u32 v[39:40], null, s5, v22, v[31:32]
	v_mad_u64_u32 v[43:44], null, s5, v23, v[36:37]
	v_add_co_u32 v36, s1, v47, v37
	s_delay_alu instid0(VALU_DEP_1) | instskip(NEXT) | instid1(VALU_DEP_4)
	v_add_co_ci_u32_e64 v37, s1, v48, v38, s1
	v_mov_b32_e32 v42, v39
	v_mad_u64_u32 v[38:39], null, s4, v19, 0
	v_mov_b32_e32 v46, v43
	s_clause 0x1
	global_store_b32 v[34:35], v20, off
	global_store_b32 v[36:37], v21, off
	v_lshlrev_b64 v[34:35], 2, v[41:42]
	v_mad_u64_u32 v[40:41], null, s4, v18, 0
	v_lshlrev_b64 v[36:37], 2, v[45:46]
	v_mov_b32_e32 v31, v39
	s_delay_alu instid0(VALU_DEP_4) | instskip(NEXT) | instid1(VALU_DEP_1)
	v_add_co_u32 v34, s1, v47, v34
	v_add_co_ci_u32_e64 v35, s1, v48, v35, s1
	s_delay_alu instid0(VALU_DEP_3) | instskip(SKIP_2) | instid1(VALU_DEP_1)
	v_mad_u64_u32 v[42:43], null, s5, v19, v[31:32]
	v_mov_b32_e32 v31, v41
	v_add_co_u32 v36, s1, v47, v36
	v_add_co_ci_u32_e64 v37, s1, v48, v37, s1
	s_delay_alu instid0(VALU_DEP_3)
	v_mad_u64_u32 v[43:44], null, s5, v18, v[31:32]
	v_mad_u64_u32 v[44:45], null, s4, v15, 0
	v_mov_b32_e32 v39, v42
	s_clause 0x1
	global_store_b32 v[34:35], v16, off
	global_store_b32 v[36:37], v17, off
	v_mad_u64_u32 v[36:37], null, s4, v14, 0
	v_mov_b32_e32 v41, v43
	v_lshlrev_b64 v[34:35], 2, v[38:39]
	v_mov_b32_e32 v31, v45
	v_mad_u64_u32 v[42:43], null, s4, v7, 0
	s_delay_alu instid0(VALU_DEP_4) | instskip(NEXT) | instid1(VALU_DEP_3)
	v_lshlrev_b64 v[38:39], 2, v[40:41]
	v_mad_u64_u32 v[40:41], null, s5, v15, v[31:32]
	v_add_co_u32 v34, s1, v47, v34
	v_mov_b32_e32 v31, v37
	v_add_co_ci_u32_e64 v35, s1, v48, v35, s1
	v_add_co_u32 v37, s1, v47, v38
	s_delay_alu instid0(VALU_DEP_1)
	v_add_co_ci_u32_e64 v38, s1, v48, v39, s1
	v_mov_b32_e32 v45, v40
	v_mad_u64_u32 v[39:40], null, s5, v14, v[31:32]
	s_clause 0x1
	global_store_b32 v[34:35], v13, off
	global_store_b32 v[37:38], v12, off
	v_mad_u64_u32 v[40:41], null, s4, v11, 0
	v_lshlrev_b64 v[34:35], 2, v[44:45]
	v_mov_b32_e32 v37, v39
	s_delay_alu instid0(VALU_DEP_2) | instskip(NEXT) | instid1(VALU_DEP_2)
	v_add_co_u32 v34, s1, v47, v34
	v_lshlrev_b64 v[36:37], 2, v[36:37]
	v_mov_b32_e32 v31, v41
	v_add_co_ci_u32_e64 v35, s1, v48, v35, s1
	s_delay_alu instid0(VALU_DEP_3) | instskip(NEXT) | instid1(VALU_DEP_1)
	v_add_co_u32 v36, s1, v47, v36
	v_add_co_ci_u32_e64 v37, s1, v48, v37, s1
	s_delay_alu instid0(VALU_DEP_4)
	v_mad_u64_u32 v[38:39], null, s5, v11, v[31:32]
	global_store_b32 v[34:35], v10, off
	v_mad_u64_u32 v[34:35], null, s4, v8, 0
	global_store_b32 v[36:37], v9, off
	v_mad_u64_u32 v[36:37], null, s4, v6, 0
	v_mov_b32_e32 v41, v38
	v_mov_b32_e32 v31, v43
	s_delay_alu instid0(VALU_DEP_2) | instskip(NEXT) | instid1(VALU_DEP_4)
	v_lshlrev_b64 v[38:39], 2, v[40:41]
	v_mad_u64_u32 v[44:45], null, s5, v8, v[35:36]
	s_delay_alu instid0(VALU_DEP_3) | instskip(SKIP_3) | instid1(VALU_DEP_1)
	v_mad_u64_u32 v[40:41], null, s5, v7, v[31:32]
	v_mad_u64_u32 v[45:46], null, s4, v5, 0
	v_mov_b32_e32 v31, v37
	v_add_co_u32 v37, s1, v47, v38
	v_add_co_ci_u32_e64 v38, s1, v48, v39, s1
	v_mov_b32_e32 v43, v40
	s_delay_alu instid0(VALU_DEP_4) | instskip(SKIP_2) | instid1(VALU_DEP_4)
	v_mad_u64_u32 v[39:40], null, s5, v6, v[31:32]
	v_mov_b32_e32 v31, v46
	v_mov_b32_e32 v35, v44
	v_lshlrev_b64 v[40:41], 2, v[42:43]
	global_store_b32 v[37:38], v4, off
	v_mad_u64_u32 v[42:43], null, s5, v5, v[31:32]
	v_mov_b32_e32 v37, v39
	v_lshlrev_b64 v[34:35], 2, v[34:35]
	v_add_co_u32 v38, s1, v47, v40
	s_delay_alu instid0(VALU_DEP_1) | instskip(SKIP_3) | instid1(VALU_DEP_1)
	v_add_co_ci_u32_e64 v39, s1, v48, v41, s1
	v_mov_b32_e32 v46, v42
	v_lshlrev_b64 v[36:37], 2, v[36:37]
	v_add_co_u32 v34, s1, v47, v34
	v_add_co_ci_u32_e64 v35, s1, v48, v35, s1
	s_delay_alu instid0(VALU_DEP_4) | instskip(NEXT) | instid1(VALU_DEP_4)
	v_lshlrev_b64 v[40:41], 2, v[45:46]
	v_add_co_u32 v36, s1, v47, v36
	s_delay_alu instid0(VALU_DEP_1) | instskip(NEXT) | instid1(VALU_DEP_3)
	v_add_co_ci_u32_e64 v37, s1, v48, v37, s1
	v_add_co_u32 v40, s1, v47, v40
	s_delay_alu instid0(VALU_DEP_1)
	v_add_co_ci_u32_e64 v41, s1, v48, v41, s1
	s_clause 0x3
	global_store_b32 v[38:39], v0, off
	global_store_b32 v[34:35], v1, off
	;; [unrolled: 1-line block ×4, first 2 shown]
.LBB0_18:
	s_or_b32 exec_lo, exec_lo, s8
	s_xor_b32 s1, s12, -1
	s_and_b32 s0, s0, vcc_lo
	s_delay_alu instid0(SALU_CYCLE_1) | instskip(NEXT) | instid1(SALU_CYCLE_1)
	s_and_b32 s0, s1, s0
	s_and_saveexec_b32 s1, s0
	s_cbranch_execz .LBB0_20
; %bb.19:
	v_mad_u64_u32 v[34:35], null, s6, v33, 0
	v_mad_u64_u32 v[36:37], null, s4, v32, 0
	v_mad_u64_u32 v[38:39], null, s4, v30, 0
	s_lshl_b64 s[0:1], s[10:11], 2
	s_delay_alu instid0(SALU_CYCLE_1) | instskip(NEXT) | instid1(VALU_DEP_3)
	s_add_u32 s0, s2, s0
	v_mov_b32_e32 v31, v35
	s_delay_alu instid0(VALU_DEP_3) | instskip(SKIP_1) | instid1(VALU_DEP_2)
	v_mov_b32_e32 v35, v37
	s_addc_u32 s1, s3, s1
	v_mad_u64_u32 v[40:41], null, s7, v33, v[31:32]
	v_mad_u64_u32 v[41:42], null, s4, v29, 0
	s_delay_alu instid0(VALU_DEP_3) | instskip(SKIP_1) | instid1(VALU_DEP_4)
	v_mad_u64_u32 v[43:44], null, s5, v32, v[35:36]
	v_mov_b32_e32 v31, v39
	v_mov_b32_e32 v35, v40
	s_delay_alu instid0(VALU_DEP_2) | instskip(NEXT) | instid1(VALU_DEP_4)
	v_mad_u64_u32 v[32:33], null, s5, v30, v[31:32]
	v_dual_mov_b32 v30, v42 :: v_dual_mov_b32 v37, v43
	s_delay_alu instid0(VALU_DEP_3) | instskip(NEXT) | instid1(VALU_DEP_2)
	v_lshlrev_b64 v[33:34], 2, v[34:35]
	v_mad_u64_u32 v[42:43], null, s5, v29, v[30:31]
	s_delay_alu instid0(VALU_DEP_3) | instskip(SKIP_1) | instid1(VALU_DEP_4)
	v_lshlrev_b64 v[29:30], 2, v[36:37]
	v_mov_b32_e32 v39, v32
	v_add_co_u32 v40, vcc_lo, s0, v33
	v_add_co_ci_u32_e32 v43, vcc_lo, s1, v34, vcc_lo
	s_delay_alu instid0(VALU_DEP_3) | instskip(NEXT) | instid1(VALU_DEP_3)
	v_lshlrev_b64 v[31:32], 2, v[38:39]
	v_add_co_u32 v29, vcc_lo, v40, v29
	s_delay_alu instid0(VALU_DEP_3) | instskip(SKIP_1) | instid1(VALU_DEP_4)
	v_add_co_ci_u32_e32 v30, vcc_lo, v43, v30, vcc_lo
	v_mad_u64_u32 v[33:34], null, s4, v25, 0
	v_add_co_u32 v31, vcc_lo, v40, v31
	global_store_b32 v[29:30], v28, off
	v_lshlrev_b64 v[28:29], 2, v[41:42]
	v_add_co_ci_u32_e32 v32, vcc_lo, v43, v32, vcc_lo
	v_mad_u64_u32 v[35:36], null, s4, v26, 0
	global_store_b32 v[31:32], v27, off
	v_mov_b32_e32 v27, v34
	v_add_co_u32 v28, vcc_lo, v40, v28
	v_add_co_ci_u32_e32 v29, vcc_lo, v43, v29, vcc_lo
	v_mov_b32_e32 v30, v36
	s_delay_alu instid0(VALU_DEP_3)
	v_mad_u64_u32 v[31:32], null, s5, v25, v[27:28]
	global_store_b32 v[28:29], v24, off
	v_mad_u64_u32 v[36:37], null, s5, v26, v[30:31]
	v_mad_u64_u32 v[25:26], null, s4, v22, 0
	;; [unrolled: 1-line block ×3, first 2 shown]
	v_mov_b32_e32 v34, v31
	s_delay_alu instid0(VALU_DEP_4) | instskip(NEXT) | instid1(VALU_DEP_4)
	v_lshlrev_b64 v[29:30], 2, v[35:36]
	v_mov_b32_e32 v24, v26
	s_delay_alu instid0(VALU_DEP_3) | instskip(SKIP_1) | instid1(VALU_DEP_3)
	v_lshlrev_b64 v[26:27], 2, v[33:34]
	v_mov_b32_e32 v28, v38
	v_mad_u64_u32 v[31:32], null, s5, v22, v[24:25]
	s_delay_alu instid0(VALU_DEP_3) | instskip(NEXT) | instid1(VALU_DEP_3)
	v_add_co_u32 v22, vcc_lo, v40, v26
	v_mad_u64_u32 v[32:33], null, s5, v23, v[28:29]
	v_add_co_ci_u32_e32 v23, vcc_lo, v43, v27, vcc_lo
	v_add_co_u32 v27, vcc_lo, v40, v29
	v_add_co_ci_u32_e32 v28, vcc_lo, v43, v30, vcc_lo
	s_delay_alu instid0(VALU_DEP_4)
	v_mov_b32_e32 v38, v32
	v_mad_u64_u32 v[29:30], null, s4, v19, 0
	v_mov_b32_e32 v26, v31
	s_clause 0x1
	global_store_b32 v[22:23], v20, off
	global_store_b32 v[27:28], v21, off
	v_lshlrev_b64 v[22:23], 2, v[37:38]
	v_lshlrev_b64 v[20:21], 2, v[25:26]
	v_mad_u64_u32 v[24:25], null, s4, v18, 0
	v_mov_b32_e32 v26, v30
	s_delay_alu instid0(VALU_DEP_3) | instskip(NEXT) | instid1(VALU_DEP_2)
	v_add_co_u32 v20, vcc_lo, v40, v20
	v_mad_u64_u32 v[27:28], null, s5, v19, v[26:27]
	s_delay_alu instid0(VALU_DEP_4) | instskip(SKIP_3) | instid1(VALU_DEP_4)
	v_mov_b32_e32 v19, v25
	v_add_co_ci_u32_e32 v21, vcc_lo, v43, v21, vcc_lo
	v_add_co_u32 v22, vcc_lo, v40, v22
	v_add_co_ci_u32_e32 v23, vcc_lo, v43, v23, vcc_lo
	v_mad_u64_u32 v[25:26], null, s5, v18, v[19:20]
	s_clause 0x1
	global_store_b32 v[20:21], v16, off
	global_store_b32 v[22:23], v17, off
	v_mad_u64_u32 v[20:21], null, s4, v14, 0
	v_mov_b32_e32 v30, v27
	v_mad_u64_u32 v[18:19], null, s4, v15, 0
	v_lshlrev_b64 v[22:23], 2, v[24:25]
	s_delay_alu instid0(VALU_DEP_3) | instskip(NEXT) | instid1(VALU_DEP_3)
	v_lshlrev_b64 v[16:17], 2, v[29:30]
	v_mad_u64_u32 v[24:25], null, s5, v15, v[19:20]
	s_delay_alu instid0(VALU_DEP_2) | instskip(NEXT) | instid1(VALU_DEP_3)
	v_add_co_u32 v15, vcc_lo, v40, v16
	v_add_co_ci_u32_e32 v16, vcc_lo, v43, v17, vcc_lo
	v_mov_b32_e32 v17, v21
	v_add_co_u32 v21, vcc_lo, v40, v22
	v_add_co_ci_u32_e32 v22, vcc_lo, v43, v23, vcc_lo
	v_mov_b32_e32 v19, v24
	s_delay_alu instid0(VALU_DEP_4)
	v_mad_u64_u32 v[23:24], null, s5, v14, v[17:18]
	v_mad_u64_u32 v[24:25], null, s4, v11, 0
	s_clause 0x1
	global_store_b32 v[15:16], v13, off
	global_store_b32 v[21:22], v12, off
	v_mov_b32_e32 v12, v25
	v_lshlrev_b64 v[13:14], 2, v[18:19]
	s_delay_alu instid0(VALU_DEP_1) | instskip(NEXT) | instid1(VALU_DEP_2)
	v_add_co_u32 v13, vcc_lo, v40, v13
	v_add_co_ci_u32_e32 v14, vcc_lo, v43, v14, vcc_lo
	s_delay_alu instid0(VALU_DEP_2) | instskip(SKIP_4) | instid1(VALU_DEP_3)
	v_mad_u64_u32 v[17:18], null, s5, v11, v[12:13]
	global_store_b32 v[13:14], v10, off
	v_mad_u64_u32 v[13:14], null, s4, v8, 0
	v_mov_b32_e32 v21, v23
	v_mad_u64_u32 v[11:12], null, s4, v7, 0
	v_mov_b32_e32 v10, v14
	s_delay_alu instid0(VALU_DEP_3) | instskip(NEXT) | instid1(VALU_DEP_1)
	v_lshlrev_b64 v[15:16], 2, v[20:21]
	v_add_co_u32 v15, vcc_lo, v40, v15
	s_delay_alu instid0(VALU_DEP_2) | instskip(SKIP_3) | instid1(VALU_DEP_2)
	v_add_co_ci_u32_e32 v16, vcc_lo, v43, v16, vcc_lo
	global_store_b32 v[15:16], v9, off
	v_mov_b32_e32 v9, v12
	v_mad_u64_u32 v[15:16], null, s4, v6, 0
	v_mad_u64_u32 v[19:20], null, s5, v7, v[9:10]
	v_mov_b32_e32 v25, v17
	v_mad_u64_u32 v[20:21], null, s5, v8, v[10:11]
	v_mad_u64_u32 v[8:9], null, s4, v5, 0
	s_delay_alu instid0(VALU_DEP_4) | instskip(NEXT) | instid1(VALU_DEP_4)
	v_dual_mov_b32 v7, v16 :: v_dual_mov_b32 v12, v19
	v_lshlrev_b64 v[17:18], 2, v[24:25]
	s_delay_alu instid0(VALU_DEP_4) | instskip(NEXT) | instid1(VALU_DEP_2)
	v_mov_b32_e32 v14, v20
	v_add_co_u32 v16, vcc_lo, v40, v17
	s_delay_alu instid0(VALU_DEP_3)
	v_add_co_ci_u32_e32 v17, vcc_lo, v43, v18, vcc_lo
	global_store_b32 v[16:17], v4, off
	v_mov_b32_e32 v4, v9
	v_mad_u64_u32 v[18:19], null, s5, v6, v[7:8]
	v_lshlrev_b64 v[6:7], 2, v[11:12]
	v_lshlrev_b64 v[10:11], 2, v[13:14]
	s_delay_alu instid0(VALU_DEP_4) | instskip(NEXT) | instid1(VALU_DEP_4)
	v_mad_u64_u32 v[12:13], null, s5, v5, v[4:5]
	v_mov_b32_e32 v16, v18
	s_delay_alu instid0(VALU_DEP_4) | instskip(SKIP_1) | instid1(VALU_DEP_4)
	v_add_co_u32 v4, vcc_lo, v40, v6
	v_add_co_ci_u32_e32 v5, vcc_lo, v43, v7, vcc_lo
	v_mov_b32_e32 v9, v12
	s_delay_alu instid0(VALU_DEP_4) | instskip(SKIP_2) | instid1(VALU_DEP_4)
	v_lshlrev_b64 v[6:7], 2, v[15:16]
	v_add_co_u32 v10, vcc_lo, v40, v10
	v_add_co_ci_u32_e32 v11, vcc_lo, v43, v11, vcc_lo
	v_lshlrev_b64 v[8:9], 2, v[8:9]
	s_delay_alu instid0(VALU_DEP_4) | instskip(SKIP_1) | instid1(VALU_DEP_3)
	v_add_co_u32 v6, vcc_lo, v40, v6
	v_add_co_ci_u32_e32 v7, vcc_lo, v43, v7, vcc_lo
	v_add_co_u32 v8, vcc_lo, v40, v8
	s_delay_alu instid0(VALU_DEP_4)
	v_add_co_ci_u32_e32 v9, vcc_lo, v43, v9, vcc_lo
	s_clause 0x3
	global_store_b32 v[4:5], v0, off
	global_store_b32 v[10:11], v1, off
	global_store_b32 v[6:7], v3, off
	global_store_b32 v[8:9], v2, off
.LBB0_20:
	s_nop 0
	s_sendmsg sendmsg(MSG_DEALLOC_VGPRS)
	s_endpgm
	.section	.rodata,"a",@progbits
	.p2align	6, 0x0
	.amdhsa_kernel fft_rtc_fwd_len208_factors_13_16_wgs_144_tpt_16_half_ip_CI_sbcc_twdbase8_2step_dirReg
		.amdhsa_group_segment_fixed_size 0
		.amdhsa_private_segment_fixed_size 0
		.amdhsa_kernarg_size 96
		.amdhsa_user_sgpr_count 15
		.amdhsa_user_sgpr_dispatch_ptr 0
		.amdhsa_user_sgpr_queue_ptr 0
		.amdhsa_user_sgpr_kernarg_segment_ptr 1
		.amdhsa_user_sgpr_dispatch_id 0
		.amdhsa_user_sgpr_private_segment_size 0
		.amdhsa_wavefront_size32 1
		.amdhsa_uses_dynamic_stack 0
		.amdhsa_enable_private_segment 0
		.amdhsa_system_sgpr_workgroup_id_x 1
		.amdhsa_system_sgpr_workgroup_id_y 0
		.amdhsa_system_sgpr_workgroup_id_z 0
		.amdhsa_system_sgpr_workgroup_info 0
		.amdhsa_system_vgpr_workitem_id 0
		.amdhsa_next_free_vgpr 93
		.amdhsa_next_free_sgpr 46
		.amdhsa_reserve_vcc 1
		.amdhsa_float_round_mode_32 0
		.amdhsa_float_round_mode_16_64 0
		.amdhsa_float_denorm_mode_32 3
		.amdhsa_float_denorm_mode_16_64 3
		.amdhsa_dx10_clamp 1
		.amdhsa_ieee_mode 1
		.amdhsa_fp16_overflow 0
		.amdhsa_workgroup_processor_mode 1
		.amdhsa_memory_ordered 1
		.amdhsa_forward_progress 0
		.amdhsa_shared_vgpr_count 0
		.amdhsa_exception_fp_ieee_invalid_op 0
		.amdhsa_exception_fp_denorm_src 0
		.amdhsa_exception_fp_ieee_div_zero 0
		.amdhsa_exception_fp_ieee_overflow 0
		.amdhsa_exception_fp_ieee_underflow 0
		.amdhsa_exception_fp_ieee_inexact 0
		.amdhsa_exception_int_div_zero 0
	.end_amdhsa_kernel
	.text
.Lfunc_end0:
	.size	fft_rtc_fwd_len208_factors_13_16_wgs_144_tpt_16_half_ip_CI_sbcc_twdbase8_2step_dirReg, .Lfunc_end0-fft_rtc_fwd_len208_factors_13_16_wgs_144_tpt_16_half_ip_CI_sbcc_twdbase8_2step_dirReg
                                        ; -- End function
	.section	.AMDGPU.csdata,"",@progbits
; Kernel info:
; codeLenInByte = 11516
; NumSgprs: 48
; NumVgprs: 93
; ScratchSize: 0
; MemoryBound: 0
; FloatMode: 240
; IeeeMode: 1
; LDSByteSize: 0 bytes/workgroup (compile time only)
; SGPRBlocks: 5
; VGPRBlocks: 11
; NumSGPRsForWavesPerEU: 48
; NumVGPRsForWavesPerEU: 93
; Occupancy: 15
; WaveLimiterHint : 1
; COMPUTE_PGM_RSRC2:SCRATCH_EN: 0
; COMPUTE_PGM_RSRC2:USER_SGPR: 15
; COMPUTE_PGM_RSRC2:TRAP_HANDLER: 0
; COMPUTE_PGM_RSRC2:TGID_X_EN: 1
; COMPUTE_PGM_RSRC2:TGID_Y_EN: 0
; COMPUTE_PGM_RSRC2:TGID_Z_EN: 0
; COMPUTE_PGM_RSRC2:TIDIG_COMP_CNT: 0
	.text
	.p2alignl 7, 3214868480
	.fill 96, 4, 3214868480
	.type	__hip_cuid_3d366cb5f5ec007d,@object ; @__hip_cuid_3d366cb5f5ec007d
	.section	.bss,"aw",@nobits
	.globl	__hip_cuid_3d366cb5f5ec007d
__hip_cuid_3d366cb5f5ec007d:
	.byte	0                               ; 0x0
	.size	__hip_cuid_3d366cb5f5ec007d, 1

	.ident	"AMD clang version 19.0.0git (https://github.com/RadeonOpenCompute/llvm-project roc-6.4.0 25133 c7fe45cf4b819c5991fe208aaa96edf142730f1d)"
	.section	".note.GNU-stack","",@progbits
	.addrsig
	.addrsig_sym __hip_cuid_3d366cb5f5ec007d
	.amdgpu_metadata
---
amdhsa.kernels:
  - .args:
      - .actual_access:  read_only
        .address_space:  global
        .offset:         0
        .size:           8
        .value_kind:     global_buffer
      - .address_space:  global
        .offset:         8
        .size:           8
        .value_kind:     global_buffer
      - .offset:         16
        .size:           8
        .value_kind:     by_value
      - .actual_access:  read_only
        .address_space:  global
        .offset:         24
        .size:           8
        .value_kind:     global_buffer
      - .actual_access:  read_only
        .address_space:  global
        .offset:         32
        .size:           8
        .value_kind:     global_buffer
      - .offset:         40
        .size:           8
        .value_kind:     by_value
      - .actual_access:  read_only
        .address_space:  global
        .offset:         48
        .size:           8
        .value_kind:     global_buffer
      - .actual_access:  read_only
        .address_space:  global
        .offset:         56
        .size:           8
        .value_kind:     global_buffer
      - .offset:         64
        .size:           4
        .value_kind:     by_value
      - .actual_access:  read_only
        .address_space:  global
        .offset:         72
        .size:           8
        .value_kind:     global_buffer
      - .actual_access:  read_only
        .address_space:  global
        .offset:         80
        .size:           8
        .value_kind:     global_buffer
      - .address_space:  global
        .offset:         88
        .size:           8
        .value_kind:     global_buffer
    .group_segment_fixed_size: 0
    .kernarg_segment_align: 8
    .kernarg_segment_size: 96
    .language:       OpenCL C
    .language_version:
      - 2
      - 0
    .max_flat_workgroup_size: 144
    .name:           fft_rtc_fwd_len208_factors_13_16_wgs_144_tpt_16_half_ip_CI_sbcc_twdbase8_2step_dirReg
    .private_segment_fixed_size: 0
    .sgpr_count:     48
    .sgpr_spill_count: 0
    .symbol:         fft_rtc_fwd_len208_factors_13_16_wgs_144_tpt_16_half_ip_CI_sbcc_twdbase8_2step_dirReg.kd
    .uniform_work_group_size: 1
    .uses_dynamic_stack: false
    .vgpr_count:     93
    .vgpr_spill_count: 0
    .wavefront_size: 32
    .workgroup_processor_mode: 1
amdhsa.target:   amdgcn-amd-amdhsa--gfx1100
amdhsa.version:
  - 1
  - 2
...

	.end_amdgpu_metadata
